;; amdgpu-corpus repo=ROCm/rocFFT kind=compiled arch=gfx1030 opt=O3
	.text
	.amdgcn_target "amdgcn-amd-amdhsa--gfx1030"
	.amdhsa_code_object_version 6
	.protected	bluestein_single_fwd_len1815_dim1_sp_op_CI_CI ; -- Begin function bluestein_single_fwd_len1815_dim1_sp_op_CI_CI
	.globl	bluestein_single_fwd_len1815_dim1_sp_op_CI_CI
	.p2align	8
	.type	bluestein_single_fwd_len1815_dim1_sp_op_CI_CI,@function
bluestein_single_fwd_len1815_dim1_sp_op_CI_CI: ; @bluestein_single_fwd_len1815_dim1_sp_op_CI_CI
; %bb.0:
	s_load_dwordx4 s[12:15], s[4:5], 0x28
	v_mul_u32_u24_e32 v1, 0x18e, v0
	v_mov_b32_e32 v77, 0
	s_mov_b32 s0, exec_lo
	v_lshrrev_b32_e32 v1, 16, v1
	v_add_nc_u32_e32 v76, s6, v1
	s_waitcnt lgkmcnt(0)
	v_cmpx_gt_u64_e64 s[12:13], v[76:77]
	s_cbranch_execz .LBB0_18
; %bb.1:
	s_clause 0x1
	s_load_dwordx4 s[8:11], s[4:5], 0x18
	s_load_dwordx4 s[0:3], s[4:5], 0x0
	v_mul_lo_u16 v1, 0xa5, v1
	v_mov_b32_e32 v40, 3
	s_load_dwordx2 s[4:5], s[4:5], 0x38
	v_sub_nc_u16 v8, v0, v1
	v_and_b32_e32 v114, 0xffff, v8
	v_lshlrev_b32_e32 v113, 3, v114
	s_waitcnt lgkmcnt(0)
	s_load_dwordx4 s[16:19], s[8:9], 0x0
	s_clause 0x1
	global_load_dwordx2 v[91:92], v113, s[0:1]
	global_load_dwordx2 v[89:90], v113, s[0:1] offset:1320
	v_add_co_u32 v74, s6, s0, v113
	v_add_co_ci_u32_e64 v75, null, s1, 0, s6
	v_add_co_u32 v0, vcc_lo, 0x800, v74
	v_add_co_ci_u32_e32 v1, vcc_lo, 0, v75, vcc_lo
	v_add_co_u32 v4, vcc_lo, 0x1000, v74
	v_add_co_ci_u32_e32 v5, vcc_lo, 0, v75, vcc_lo
	;; [unrolled: 2-line block ×3, first 2 shown]
	s_waitcnt lgkmcnt(0)
	v_mad_u64_u32 v[2:3], null, s18, v76, 0
	v_mad_u64_u32 v[6:7], null, s16, v114, 0
	v_add_co_u32 v11, vcc_lo, 0x2000, v74
	v_add_co_ci_u32_e32 v12, vcc_lo, 0, v75, vcc_lo
	v_mad_u64_u32 v[13:14], null, s19, v76, v[3:4]
	v_mad_u64_u32 v[16:17], null, s17, v114, v[7:8]
	v_add_co_u32 v14, vcc_lo, 0x2800, v74
	s_clause 0x2
	global_load_dwordx2 v[97:98], v[0:1], off offset:592
	global_load_dwordx2 v[95:96], v[0:1], off offset:1912
	global_load_dwordx2 v[93:94], v[4:5], off offset:1184
	v_add_co_ci_u32_e32 v15, vcc_lo, 0, v75, vcc_lo
	v_mov_b32_e32 v3, v13
	v_mov_b32_e32 v7, v16
	v_add_co_u32 v17, vcc_lo, 0x3000, v74
	v_add_co_ci_u32_e32 v18, vcc_lo, 0, v75, vcc_lo
	v_lshlrev_b64 v[0:1], 3, v[2:3]
	v_lshlrev_b64 v[2:3], 3, v[6:7]
	s_mul_i32 s0, s17, 0x528
	s_mul_hi_u32 s1, s16, 0x528
	s_mul_i32 s6, s16, 0x528
	s_add_i32 s1, s1, s0
	v_add_co_u32 v0, vcc_lo, s14, v0
	v_add_co_ci_u32_e32 v1, vcc_lo, s15, v1, vcc_lo
	s_clause 0x1
	global_load_dwordx2 v[87:88], v[9:10], off offset:456
	global_load_dwordx2 v[79:80], v[9:10], off offset:1776
	v_add_co_u32 v0, vcc_lo, v0, v2
	v_add_co_ci_u32_e32 v1, vcc_lo, v1, v3, vcc_lo
	s_clause 0x1
	global_load_dwordx2 v[81:82], v[11:12], off offset:1048
	global_load_dwordx2 v[77:78], v[14:15], off offset:320
	v_add_co_u32 v2, vcc_lo, v0, s6
	v_add_co_ci_u32_e32 v3, vcc_lo, s1, v1, vcc_lo
	v_cmp_gt_u16_e64 s0, 0x6e, v8
	v_add_co_u32 v4, vcc_lo, v2, s6
	v_add_co_ci_u32_e32 v5, vcc_lo, s1, v3, vcc_lo
	s_clause 0x1
	global_load_dwordx2 v[0:1], v[0:1], off
	global_load_dwordx2 v[2:3], v[2:3], off
	v_add_co_u32 v6, vcc_lo, v4, s6
	v_add_co_ci_u32_e32 v7, vcc_lo, s1, v5, vcc_lo
	global_load_dwordx2 v[4:5], v[4:5], off
	v_add_co_u32 v9, vcc_lo, v6, s6
	v_add_co_ci_u32_e32 v10, vcc_lo, s1, v7, vcc_lo
	s_clause 0x1
	global_load_dwordx2 v[19:20], v[6:7], off
	global_load_dwordx2 v[21:22], v[9:10], off
	v_add_co_u32 v11, vcc_lo, v9, s6
	v_add_co_ci_u32_e32 v12, vcc_lo, s1, v10, vcc_lo
	v_add_co_u32 v6, vcc_lo, v11, s6
	v_add_co_ci_u32_e32 v7, vcc_lo, s1, v12, vcc_lo
	global_load_dwordx2 v[11:12], v[11:12], off
	v_add_co_u32 v9, vcc_lo, v6, s6
	v_add_co_ci_u32_e32 v10, vcc_lo, s1, v7, vcc_lo
	global_load_dwordx2 v[23:24], v[6:7], off
	;; [unrolled: 3-line block ×4, first 2 shown]
	v_add_co_u32 v6, vcc_lo, v9, s6
	v_add_co_ci_u32_e32 v7, vcc_lo, s1, v10, vcc_lo
	global_load_dwordx2 v[83:84], v[14:15], off offset:1640
	global_load_dwordx2 v[13:14], v[9:10], off
	global_load_dwordx2 v[85:86], v[17:18], off offset:912
	global_load_dwordx2 v[15:16], v[6:7], off
	v_add_nc_u32_e32 v6, 0x800, v113
	v_add_nc_u32_e32 v7, 0x1400, v113
	v_add_nc_u32_e32 v9, 0x1e00, v113
	s_load_dwordx4 s[8:11], s[10:11], 0x0
	s_waitcnt vmcnt(12)
	v_mul_f32_e32 v17, v1, v92
	v_mul_f32_e32 v10, v0, v92
	s_waitcnt vmcnt(11)
	v_mul_f32_e32 v29, v3, v90
	v_mul_f32_e32 v30, v2, v90
	v_fmac_f32_e32 v17, v0, v91
	v_fma_f32 v18, v1, v91, -v10
	v_fmac_f32_e32 v29, v2, v89
	v_fma_f32 v30, v3, v89, -v30
	s_waitcnt vmcnt(10)
	v_mul_f32_e32 v0, v5, v98
	v_mul_f32_e32 v1, v4, v98
	v_add_nc_u32_e32 v10, 0x2800, v113
	s_waitcnt vmcnt(9)
	v_mul_f32_e32 v2, v20, v96
	ds_write2_b64 v113, v[17:18], v[29:30] offset1:165
	v_mul_f32_e32 v3, v19, v96
	v_fmac_f32_e32 v0, v4, v97
	v_fma_f32 v1, v5, v97, -v1
	s_waitcnt vmcnt(8)
	v_mul_f32_e32 v4, v22, v94
	v_mul_f32_e32 v5, v21, v94
	v_fmac_f32_e32 v2, v19, v95
	v_fma_f32 v3, v20, v95, -v3
	v_add_nc_u32_e32 v30, 0x2400, v113
	v_fmac_f32_e32 v4, v21, v93
	s_waitcnt vmcnt(7)
	v_mul_f32_e32 v17, v12, v88
	v_mul_f32_e32 v18, v11, v88
	v_fma_f32 v5, v22, v93, -v5
	v_fmac_f32_e32 v17, v11, v87
	s_waitcnt vmcnt(6)
	v_mul_f32_e32 v11, v24, v80
	v_fma_f32 v18, v12, v87, -v18
	v_mul_f32_e32 v12, v23, v80
	s_waitcnt vmcnt(5)
	v_mul_f32_e32 v19, v26, v82
	v_mul_f32_e32 v20, v25, v82
	v_fmac_f32_e32 v11, v23, v79
	v_fma_f32 v12, v24, v79, -v12
	s_waitcnt vmcnt(4)
	v_mul_f32_e32 v21, v28, v78
	v_mul_f32_e32 v22, v27, v78
	v_fmac_f32_e32 v19, v25, v81
	s_waitcnt vmcnt(2)
	v_mul_f32_e32 v23, v14, v84
	v_mul_f32_e32 v24, v13, v84
	v_fma_f32 v20, v26, v81, -v20
	s_waitcnt vmcnt(0)
	v_mul_f32_e32 v25, v16, v86
	v_mul_f32_e32 v26, v15, v86
	v_fmac_f32_e32 v21, v27, v77
	v_fma_f32 v22, v28, v77, -v22
	v_fmac_f32_e32 v23, v13, v83
	v_fma_f32 v24, v14, v83, -v24
	;; [unrolled: 2-line block ×3, first 2 shown]
	ds_write2_b64 v6, v[0:1], v[2:3] offset0:74 offset1:239
	ds_write2_b64 v7, v[4:5], v[17:18] offset0:20 offset1:185
	;; [unrolled: 1-line block ×4, first 2 shown]
	ds_write_b64 v113, v[25:26] offset:13200
	s_waitcnt lgkmcnt(0)
	s_barrier
	buffer_gl0_inv
	ds_read2_b64 v[0:3], v113 offset1:165
	ds_read_b64 v[4:5], v113 offset:13200
	ds_read2_b64 v[11:14], v7 offset0:20 offset1:185
	ds_read2_b64 v[15:18], v9 offset0:30 offset1:195
	;; [unrolled: 1-line block ×4, first 2 shown]
	v_mul_lo_u16 v7, v8, 11
	v_add_nc_u32_e32 v27, 0x1200, v113
	s_waitcnt lgkmcnt(0)
	s_barrier
	buffer_gl0_inv
	v_lshlrev_b32_sdwa v111, v40, v7 dst_sel:DWORD dst_unused:UNUSED_PAD src0_sel:DWORD src1_sel:WORD_0
	v_sub_f32_e32 v6, v3, v5
	v_sub_f32_e32 v7, v2, v4
	v_add_f32_e32 v9, v4, v2
	v_add_f32_e32 v10, v5, v3
	;; [unrolled: 1-line block ×4, first 2 shown]
	v_sub_f32_e32 v31, v11, v17
	v_sub_f32_e32 v32, v12, v18
	;; [unrolled: 1-line block ×3, first 2 shown]
	v_add_f32_e32 v2, v2, v19
	v_add_f32_e32 v3, v3, v20
	v_sub_f32_e32 v36, v14, v16
	v_sub_f32_e32 v39, v19, v25
	;; [unrolled: 1-line block ×5, first 2 shown]
	v_mul_f32_e32 v46, 0xbf0a6770, v6
	v_mul_f32_e32 v47, 0xbf0a6770, v7
	;; [unrolled: 1-line block ×7, first 2 shown]
	v_add_f32_e32 v2, v2, v21
	v_add_f32_e32 v3, v3, v22
	v_mul_f32_e32 v53, 0xbf4178ce, v7
	v_mul_f32_e32 v6, 0xbe903f40, v6
	;; [unrolled: 1-line block ×3, first 2 shown]
	v_add_f32_e32 v28, v17, v11
	v_add_f32_e32 v29, v18, v12
	;; [unrolled: 1-line block ×8, first 2 shown]
	v_mul_f32_e32 v19, 0xbf68dda4, v41
	v_mul_f32_e32 v20, 0xbf68dda4, v39
	v_mul_f32_e32 v54, 0xbf7d64f0, v45
	v_mul_f32_e32 v55, 0xbf7d64f0, v44
	v_mul_f32_e32 v56, 0xbf4178ce, v32
	v_mul_f32_e32 v57, 0xbf4178ce, v31
	v_mul_f32_e32 v58, 0xbe903f40, v36
	v_mul_f32_e32 v59, 0xbe903f40, v35
	v_mul_f32_e32 v60, 0xbf4178ce, v41
	v_mul_f32_e32 v61, 0xbf4178ce, v39
	v_mul_f32_e32 v62, 0x3e903f40, v45
	v_mul_f32_e32 v63, 0x3e903f40, v44
	v_mul_f32_e32 v64, 0x3f7d64f0, v32
	v_mul_f32_e32 v65, 0x3f7d64f0, v31
	v_mul_f32_e32 v66, 0x3f0a6770, v36
	v_mul_f32_e32 v67, 0x3f0a6770, v35
	v_mul_f32_e32 v68, 0x3e903f40, v41
	v_mul_f32_e32 v69, 0x3e903f40, v39
	v_mul_f32_e32 v70, 0x3f68dda4, v45
	v_mul_f32_e32 v71, 0x3f68dda4, v44
	v_mul_f32_e32 v72, 0xbf0a6770, v32
	v_mul_f32_e32 v73, 0xbf0a6770, v31
	v_mul_f32_e32 v99, 0xbf4178ce, v36
	v_mul_f32_e32 v100, 0xbf4178ce, v35
	v_mul_f32_e32 v101, 0x3f7d64f0, v41
	v_mul_f32_e32 v102, 0x3f7d64f0, v39
	v_mul_f32_e32 v103, 0xbf0a6770, v45
	v_mul_f32_e32 v104, 0xbf0a6770, v44
	v_mul_f32_e32 v105, 0xbe903f40, v32
	v_mul_f32_e32 v106, 0xbe903f40, v31
	v_mul_f32_e32 v107, 0x3f68dda4, v36
	v_mul_f32_e32 v108, 0x3f68dda4, v35
	v_mul_f32_e32 v41, 0x3f0a6770, v41
	v_mul_f32_e32 v39, 0x3f0a6770, v39
	v_mul_f32_e32 v45, 0xbf4178ce, v45
	v_mul_f32_e32 v44, 0xbf4178ce, v44
	v_mul_f32_e32 v32, 0x3f68dda4, v32
	v_mul_f32_e32 v31, 0x3f68dda4, v31
	v_mul_f32_e32 v36, 0xbf7d64f0, v36
	v_mul_f32_e32 v35, 0xbf7d64f0, v35
	v_fma_f32 v109, 0x3f575c64, v9, -v46
	v_fmamk_f32 v110, v10, 0x3f575c64, v47
	v_fmac_f32_e32 v46, 0x3f575c64, v9
	v_fma_f32 v47, 0x3f575c64, v10, -v47
	v_fma_f32 v112, 0x3ed4b147, v9, -v48
	v_fmamk_f32 v115, v10, 0x3ed4b147, v49
	v_fmac_f32_e32 v48, 0x3ed4b147, v9
	v_fma_f32 v49, 0x3ed4b147, v10, -v49
	;; [unrolled: 4-line block ×3, first 2 shown]
	v_fma_f32 v118, 0xbf27a4f4, v9, -v52
	v_add_f32_e32 v2, v2, v11
	v_add_f32_e32 v3, v3, v12
	v_fmamk_f32 v119, v10, 0xbf27a4f4, v53
	v_fmac_f32_e32 v52, 0xbf27a4f4, v9
	v_fma_f32 v120, 0xbf75a155, v9, -v6
	v_fmac_f32_e32 v6, 0xbf75a155, v9
	v_fmamk_f32 v9, v10, 0xbf75a155, v7
	v_fma_f32 v53, 0xbf27a4f4, v10, -v53
	v_fma_f32 v7, 0xbf75a155, v10, -v7
	;; [unrolled: 1-line block ×3, first 2 shown]
	v_fmamk_f32 v21, v38, 0x3ed4b147, v20
	v_fma_f32 v22, 0xbe11bafb, v42, -v54
	v_fmamk_f32 v121, v43, 0xbe11bafb, v55
	v_fma_f32 v122, 0xbf27a4f4, v28, -v56
	v_fmamk_f32 v123, v29, 0xbf27a4f4, v57
	v_fma_f32 v124, 0xbf75a155, v33, -v58
	v_fmamk_f32 v125, v34, 0xbf75a155, v59
	v_fmac_f32_e32 v19, 0x3ed4b147, v37
	v_fma_f32 v20, 0x3ed4b147, v38, -v20
	v_fmac_f32_e32 v54, 0xbe11bafb, v42
	v_fma_f32 v55, 0xbe11bafb, v43, -v55
	v_fmac_f32_e32 v56, 0xbf27a4f4, v28
	v_fma_f32 v57, 0xbf27a4f4, v29, -v57
	v_fmac_f32_e32 v58, 0xbf75a155, v33
	v_fma_f32 v59, 0xbf75a155, v34, -v59
	v_fma_f32 v126, 0xbf27a4f4, v37, -v60
	v_fmamk_f32 v127, v38, 0xbf27a4f4, v61
	v_fma_f32 v128, 0xbf75a155, v42, -v62
	v_fmamk_f32 v129, v43, 0xbf75a155, v63
	v_fma_f32 v130, 0xbe11bafb, v28, -v64
	v_fmamk_f32 v131, v29, 0xbe11bafb, v65
	v_fma_f32 v132, 0x3f575c64, v33, -v66
	v_fmamk_f32 v133, v34, 0x3f575c64, v67
	v_fmac_f32_e32 v60, 0xbf27a4f4, v37
	v_fma_f32 v61, 0xbf27a4f4, v38, -v61
	v_fmac_f32_e32 v62, 0xbf75a155, v42
	v_fma_f32 v63, 0xbf75a155, v43, -v63
	v_fmac_f32_e32 v64, 0xbe11bafb, v28
	v_fma_f32 v65, 0xbe11bafb, v29, -v65
	v_fmac_f32_e32 v66, 0x3f575c64, v33
	v_fma_f32 v67, 0x3f575c64, v34, -v67
	v_fma_f32 v134, 0xbf75a155, v37, -v68
	;; [unrolled: 16-line block ×4, first 2 shown]
	v_fmamk_f32 v151, v38, 0x3f575c64, v39
	v_fma_f32 v152, 0xbf27a4f4, v42, -v45
	v_fmamk_f32 v153, v43, 0xbf27a4f4, v44
	v_fma_f32 v154, 0x3ed4b147, v28, -v32
	;; [unrolled: 2-line block ×3, first 2 shown]
	v_fmamk_f32 v157, v34, 0xbe11bafb, v35
	v_fmac_f32_e32 v41, 0x3f575c64, v37
	v_fma_f32 v37, 0x3f575c64, v38, -v39
	v_fmac_f32_e32 v45, 0xbf27a4f4, v42
	v_fma_f32 v38, 0xbf27a4f4, v43, -v44
	;; [unrolled: 2-line block ×4, first 2 shown]
	v_add_f32_e32 v29, v0, v109
	v_add_f32_e32 v33, v1, v110
	;; [unrolled: 1-line block ×110, first 2 shown]
	ds_write2_b64 v111, v[2:3], v[6:7] offset0:2 offset1:3
	v_add_f32_e32 v2, v19, v4
	v_add_f32_e32 v3, v20, v5
	ds_write2_b64 v111, v[11:12], v[15:16] offset0:4 offset1:5
	ds_write2_b64 v111, v[17:18], v[13:14] offset0:6 offset1:7
	ds_write2_b64 v111, v[9:10], v[28:29] offset0:8 offset1:9
	ds_write_b64 v111, v[32:33] offset:80
	ds_write2_b64 v111, v[2:3], v[0:1] offset1:1
	s_waitcnt lgkmcnt(0)
	s_barrier
	buffer_gl0_inv
	ds_read2_b64 v[0:3], v113 offset1:165
	ds_read2_b64 v[24:27], v27 offset0:29 offset1:194
	ds_read2_b64 v[4:7], v30 offset0:58 offset1:223
	ds_read_b64 v[30:31], v113 offset:2640
	ds_read_b64 v[36:37], v113 offset:7480
	;; [unrolled: 1-line block ×3, first 2 shown]
                                        ; implicit-def: $vgpr38
	s_and_saveexec_b32 s1, s0
	s_cbranch_execz .LBB0_3
; %bb.2:
	ds_read_b64 v[28:29], v113 offset:3960
	ds_read_b64 v[32:33], v113 offset:8800
	;; [unrolled: 1-line block ×3, first 2 shown]
.LBB0_3:
	s_or_b32 exec_lo, exec_lo, s1
	v_mov_b32_e32 v16, 0xba2f
	v_add_nc_u16 v70, v114, 0x14a
	v_add_nc_u16 v8, v114, 0x1ef
	v_add_co_u32 v71, null, 0xa5, v114
	v_mov_b32_e32 v47, 33
	v_mul_u32_u24_sdwa v9, v70, v16 dst_sel:DWORD dst_unused:UNUSED_PAD src0_sel:WORD_0 src1_sel:DWORD
	v_mul_u32_u24_sdwa v10, v8, v16 dst_sel:DWORD dst_unused:UNUSED_PAD src0_sel:WORD_0 src1_sel:DWORD
	;; [unrolled: 1-line block ×3, first 2 shown]
	v_lshrrev_b32_e32 v41, 19, v9
	v_and_b32_e32 v9, 0xff, v114
	v_lshrrev_b32_e32 v116, 19, v10
	v_lshrrev_b32_e32 v44, 19, v16
	v_mul_lo_u16 v10, v41, 11
	v_mul_lo_u16 v9, 0x75, v9
	;; [unrolled: 1-line block ×3, first 2 shown]
	v_sub_nc_u16 v42, v70, v10
	v_lshrrev_b16 v17, 8, v9
	v_sub_nc_u16 v117, v8, v11
	v_lshlrev_b16 v8, 1, v42
	v_sub_nc_u16 v9, v114, v17
	v_lshlrev_b16 v10, 1, v117
	v_mad_u16 v41, v41, 33, v42
	v_lshlrev_b32_sdwa v8, v40, v8 dst_sel:DWORD dst_unused:UNUSED_PAD src0_sel:DWORD src1_sel:WORD_0
	v_lshrrev_b16 v9, 1, v9
	v_lshlrev_b32_sdwa v10, v40, v10 dst_sel:DWORD dst_unused:UNUSED_PAD src0_sel:DWORD src1_sel:WORD_0
	v_lshlrev_b32_sdwa v118, v40, v41 dst_sel:DWORD dst_unused:UNUSED_PAD src0_sel:DWORD src1_sel:WORD_0
	global_load_dwordx4 v[12:15], v8, s[2:3]
	v_and_b32_e32 v18, 0x7f, v9
	global_load_dwordx4 v[8:11], v10, s[2:3]
	v_add_nc_u16 v17, v18, v17
	v_lshrrev_b16 v43, 3, v17
	v_mul_lo_u16 v17, v44, 11
	v_mul_lo_u16 v16, v43, 11
	v_sub_nc_u16 v45, v71, v17
	v_mul_u32_u24_sdwa v42, v43, v47 dst_sel:DWORD dst_unused:UNUSED_PAD src0_sel:WORD_0 src1_sel:DWORD
	v_sub_nc_u16 v16, v114, v16
	v_mad_u16 v44, v44, 33, v45
	v_and_b32_e32 v46, 0xff, v16
	v_lshlrev_b16 v16, 1, v45
	v_lshlrev_b32_sdwa v119, v40, v44 dst_sel:DWORD dst_unused:UNUSED_PAD src0_sel:DWORD src1_sel:WORD_0
	v_lshlrev_b32_e32 v17, 4, v46
	v_lshlrev_b32_sdwa v16, v40, v16 dst_sel:DWORD dst_unused:UNUSED_PAD src0_sel:DWORD src1_sel:WORD_0
	v_add_lshl_u32 v120, v42, v46, 3
	s_clause 0x1
	global_load_dwordx4 v[20:23], v17, s[2:3]
	global_load_dwordx4 v[16:19], v16, s[2:3]
	s_waitcnt vmcnt(0) lgkmcnt(0)
	s_barrier
	buffer_gl0_inv
	v_mul_f32_e32 v42, v37, v13
	v_mul_f32_e32 v43, v36, v13
	;; [unrolled: 1-line block ×6, first 2 shown]
	v_fma_f32 v36, v36, v12, -v42
	v_fmac_f32_e32 v43, v37, v12
	v_fma_f32 v37, v34, v14, -v44
	v_mul_f32_e32 v41, v32, v9
	v_mul_f32_e32 v40, v38, v11
	v_fmac_f32_e32 v45, v35, v14
	v_fma_f32 v34, v32, v8, -v46
	v_fma_f32 v32, v38, v10, -v47
	v_add_f32_e32 v38, v36, v37
	v_fmac_f32_e32 v41, v33, v8
	v_fmac_f32_e32 v40, v39, v10
	v_sub_f32_e32 v39, v43, v45
	v_add_f32_e32 v42, v31, v43
	v_add_f32_e32 v43, v43, v45
	;; [unrolled: 1-line block ×4, first 2 shown]
	v_fma_f32 v30, -0.5, v38, v30
	v_sub_f32_e32 v44, v36, v37
	v_sub_f32_e32 v47, v41, v40
	v_fmac_f32_e32 v31, -0.5, v43
	v_fma_f32 v62, -0.5, v46, v28
	v_add_f32_e32 v35, v33, v37
	v_add_f32_e32 v36, v42, v45
	v_fmamk_f32 v37, v39, 0x3f5db3d7, v30
	v_fmac_f32_e32 v30, 0xbf5db3d7, v39
	v_fmamk_f32 v38, v44, 0xbf5db3d7, v31
	v_fmac_f32_e32 v31, 0x3f5db3d7, v44
	;; [unrolled: 2-line block ×3, first 2 shown]
	v_mul_f32_e32 v33, v25, v21
	v_mul_f32_e32 v39, v24, v21
	;; [unrolled: 1-line block ×8, first 2 shown]
	v_fma_f32 v24, v24, v20, -v33
	v_fmac_f32_e32 v39, v25, v20
	v_fma_f32 v4, v4, v22, -v42
	v_fmac_f32_e32 v43, v5, v22
	v_fma_f32 v5, v26, v16, -v44
	v_fmac_f32_e32 v45, v27, v16
	v_fma_f32 v6, v6, v18, -v46
	v_fmac_f32_e32 v47, v7, v18
	v_add_f32_e32 v48, v41, v40
	v_add_f32_e32 v25, v24, v4
	;; [unrolled: 1-line block ×4, first 2 shown]
	v_sub_f32_e32 v44, v45, v47
	v_add_f32_e32 v46, v3, v45
	v_add_f32_e32 v45, v45, v47
	v_sub_f32_e32 v49, v34, v32
	v_fma_f32 v63, -0.5, v48, v29
	v_add_f32_e32 v7, v0, v24
	v_sub_f32_e32 v26, v39, v43
	v_add_f32_e32 v27, v1, v39
	v_sub_f32_e32 v39, v24, v4
	v_add_f32_e32 v24, v2, v5
	v_fma_f32 v0, -0.5, v25, v0
	v_fma_f32 v1, -0.5, v33, v1
	v_sub_f32_e32 v48, v5, v6
	v_fma_f32 v2, -0.5, v42, v2
	v_fmac_f32_e32 v3, -0.5, v45
	v_fmamk_f32 v61, v49, 0xbf5db3d7, v63
	v_add_f32_e32 v4, v7, v4
	v_add_f32_e32 v5, v27, v43
	;; [unrolled: 1-line block ×3, first 2 shown]
	v_fmamk_f32 v24, v26, 0x3f5db3d7, v0
	v_fmamk_f32 v25, v39, 0xbf5db3d7, v1
	v_fmac_f32_e32 v63, 0x3f5db3d7, v49
	v_fmac_f32_e32 v0, 0xbf5db3d7, v26
	;; [unrolled: 1-line block ×3, first 2 shown]
	v_add_f32_e32 v7, v46, v47
	v_fmamk_f32 v26, v44, 0x3f5db3d7, v2
	v_fmamk_f32 v27, v48, 0xbf5db3d7, v3
	v_fmac_f32_e32 v2, 0xbf5db3d7, v44
	v_fmac_f32_e32 v3, 0x3f5db3d7, v48
	ds_write2_b64 v120, v[4:5], v[24:25] offset1:11
	ds_write_b64 v120, v[0:1] offset:176
	ds_write2_b64 v119, v[6:7], v[26:27] offset1:11
	ds_write_b64 v119, v[2:3] offset:176
	ds_write2_b64 v118, v[35:36], v[37:38] offset1:11
	ds_write_b64 v118, v[30:31] offset:176
	s_and_saveexec_b32 s1, s0
	s_cbranch_execz .LBB0_5
; %bb.4:
	v_add_f32_e32 v0, v29, v41
	v_add_f32_e32 v2, v28, v34
	v_mad_u16 v3, v116, 33, v117
	v_mov_b32_e32 v4, 3
	v_add_f32_e32 v1, v0, v40
	v_add_f32_e32 v0, v2, v32
	v_lshlrev_b32_sdwa v2, v4, v3 dst_sel:DWORD dst_unused:UNUSED_PAD src0_sel:DWORD src1_sel:WORD_0
	ds_write2_b64 v2, v[0:1], v[60:61] offset1:11
	ds_write_b64 v2, v[62:63] offset:176
.LBB0_5:
	s_or_b32 exec_lo, exec_lo, s1
	v_add_nc_u32_e32 v0, 0xa00, v113
	v_add_nc_u32_e32 v1, 0x1400, v113
	;; [unrolled: 1-line block ×4, first 2 shown]
	s_waitcnt lgkmcnt(0)
	s_barrier
	buffer_gl0_inv
	ds_read2_b64 v[40:43], v113 offset1:165
	ds_read2_b64 v[56:59], v0 offset0:43 offset1:208
	ds_read2_b64 v[52:55], v1 offset0:86 offset1:251
	;; [unrolled: 1-line block ×4, first 2 shown]
	v_cmp_gt_u16_e32 vcc_lo, 33, v114
                                        ; implicit-def: $vgpr64
                                        ; implicit-def: $vgpr66
                                        ; implicit-def: $vgpr68
	s_and_saveexec_b32 s1, vcc_lo
	s_cbranch_execz .LBB0_7
; %bb.6:
	ds_read_b64 v[60:61], v113 offset:2640
	ds_read_b64 v[62:63], v113 offset:5544
	;; [unrolled: 1-line block ×5, first 2 shown]
.LBB0_7:
	s_or_b32 exec_lo, exec_lo, s1
	v_and_b32_e32 v0, 0xff, v114
	v_mov_b32_e32 v1, 0xf83f
	v_mov_b32_e32 v100, 0xa5
	v_mul_lo_u16 v0, 0xf9, v0
	v_lshrrev_b16 v72, 13, v0
	v_mul_u32_u24_sdwa v0, v71, v1 dst_sel:DWORD dst_unused:UNUSED_PAD src0_sel:WORD_0 src1_sel:DWORD
	v_mul_u32_u24_sdwa v1, v70, v1 dst_sel:DWORD dst_unused:UNUSED_PAD src0_sel:WORD_0 src1_sel:DWORD
	v_mul_lo_u16 v2, v72, 33
	v_lshrrev_b32_e32 v73, 21, v0
	v_mul_u32_u24_sdwa v72, v72, v100 dst_sel:DWORD dst_unused:UNUSED_PAD src0_sel:WORD_0 src1_sel:DWORD
	v_sub_nc_u16 v0, v114, v2
	v_mul_lo_u16 v2, v73, 33
	v_and_b32_e32 v99, 0xff, v0
	v_lshrrev_b32_e32 v0, 21, v1
	v_sub_nc_u16 v71, v71, v2
	v_lshlrev_b32_e32 v1, 5, v99
	v_mul_lo_u16 v0, v0, 33
	v_lshlrev_b16 v2, 5, v71
	v_mad_u16 v71, 0xa5, v73, v71
	v_add_lshl_u32 v122, v72, v99, 3
	s_clause 0x1
	global_load_dwordx4 v[36:39], v1, s[2:3] offset:176
	global_load_dwordx4 v[28:31], v1, s[2:3] offset:192
	v_sub_nc_u16 v115, v70, v0
	v_and_b32_e32 v0, 0xffff, v2
	v_mov_b32_e32 v70, 3
	v_lshlrev_b16 v2, 5, v115
	v_add_co_u32 v0, s1, s2, v0
	v_add_co_ci_u32_e64 v1, null, s3, 0, s1
	v_and_b32_e32 v2, 0xffff, v2
	v_lshlrev_b32_sdwa v121, v70, v71 dst_sel:DWORD dst_unused:UNUSED_PAD src0_sel:DWORD src1_sel:WORD_0
	global_load_dwordx4 v[32:35], v[0:1], off offset:176
	v_add_co_u32 v2, s1, s2, v2
	v_add_co_ci_u32_e64 v3, null, s3, 0, s1
	s_clause 0x2
	global_load_dwordx4 v[24:27], v[0:1], off offset:192
	global_load_dwordx4 v[4:7], v[2:3], off offset:176
	;; [unrolled: 1-line block ×3, first 2 shown]
	s_waitcnt vmcnt(0) lgkmcnt(0)
	s_barrier
	buffer_gl0_inv
	v_mul_f32_e32 v71, v57, v37
	v_mul_f32_e32 v72, v56, v37
	;; [unrolled: 1-line block ×8, first 2 shown]
	v_fma_f32 v56, v56, v36, -v71
	v_fmac_f32_e32 v72, v57, v36
	v_fma_f32 v52, v52, v38, -v73
	v_fmac_f32_e32 v99, v53, v38
	;; [unrolled: 2-line block ×4, first 2 shown]
	v_mul_f32_e32 v53, v59, v33
	v_mul_f32_e32 v73, v58, v33
	;; [unrolled: 1-line block ×16, first 2 shown]
	v_fma_f32 v58, v58, v32, -v53
	v_fmac_f32_e32 v73, v59, v32
	v_fma_f32 v54, v54, v34, -v100
	v_fmac_f32_e32 v102, v55, v34
	;; [unrolled: 2-line block ×8, first 2 shown]
	v_add_f32_e32 v53, v40, v56
	v_add_f32_e32 v55, v52, v57
	v_sub_f32_e32 v63, v72, v103
	v_sub_f32_e32 v59, v56, v52
	;; [unrolled: 1-line block ×3, first 2 shown]
	v_add_f32_e32 v65, v56, v71
	v_sub_f32_e32 v66, v52, v56
	v_sub_f32_e32 v67, v57, v71
	v_add_f32_e32 v68, v41, v72
	v_add_f32_e32 v69, v99, v101
	v_sub_f32_e32 v106, v56, v71
	v_sub_f32_e32 v56, v72, v99
	;; [unrolled: 1-line block ×3, first 2 shown]
	v_add_f32_e32 v109, v72, v103
	v_sub_f32_e32 v72, v99, v72
	v_sub_f32_e32 v110, v101, v103
	;; [unrolled: 1-line block ×4, first 2 shown]
	v_add_f32_e32 v112, v53, v52
	v_fma_f32 v52, -0.5, v55, v40
	v_add_f32_e32 v124, v59, v62
	v_fma_f32 v40, -0.5, v65, v40
	v_add_f32_e32 v125, v66, v67
	v_add_f32_e32 v55, v68, v99
	v_fma_f32 v53, -0.5, v69, v41
	v_add_f32_e32 v68, v56, v100
	v_fma_f32 v41, -0.5, v109, v41
	v_add_f32_e32 v69, v72, v110
	v_add_f32_e32 v56, v42, v58
	;; [unrolled: 1-line block ×3, first 2 shown]
	v_sub_f32_e32 v62, v58, v54
	v_sub_f32_e32 v65, v123, v104
	v_add_f32_e32 v66, v58, v123
	v_sub_f32_e32 v67, v54, v58
	v_sub_f32_e32 v99, v104, v123
	v_add_f32_e32 v100, v43, v73
	v_add_f32_e32 v110, v102, v105
	v_sub_f32_e32 v126, v58, v123
	v_sub_f32_e32 v58, v73, v102
	;; [unrolled: 1-line block ×3, first 2 shown]
	v_add_f32_e32 v131, v51, v47
	v_add_f32_e32 v136, v50, v46
	v_add_f32_e32 v139, v48, v45
	v_add_f32_e32 v144, v49, v44
	v_add_f32_e32 v129, v73, v107
	v_sub_f32_e32 v72, v73, v107
	v_sub_f32_e32 v109, v102, v105
	;; [unrolled: 1-line block ×8, first 2 shown]
	v_add_f32_e32 v112, v112, v57
	v_add_f32_e32 v147, v55, v101
	;; [unrolled: 1-line block ×4, first 2 shown]
	v_fma_f32 v54, -0.5, v59, v42
	v_add_f32_e32 v150, v67, v99
	v_add_f32_e32 v65, v100, v102
	v_fma_f32 v55, -0.5, v110, v43
	v_add_f32_e32 v110, v58, v128
	v_fma_f32 v99, -0.5, v131, v60
	v_fma_f32 v100, -0.5, v139, v61
	;; [unrolled: 1-line block ×4, first 2 shown]
	v_fmamk_f32 v58, v64, 0xbf737871, v40
	v_fmac_f32_e32 v40, 0x3f737871, v64
	v_fmamk_f32 v57, v106, 0xbf737871, v53
	v_fmac_f32_e32 v53, 0x3f737871, v106
	v_fmamk_f32 v59, v108, 0x3f737871, v41
	v_fmac_f32_e32 v41, 0xbf737871, v108
	v_fmamk_f32 v56, v63, 0x3f737871, v52
	v_fmac_f32_e32 v52, 0xbf737871, v63
	v_fma_f32 v42, -0.5, v66, v42
	v_fmac_f32_e32 v43, -0.5, v129
	v_sub_f32_e32 v130, v105, v107
	v_sub_f32_e32 v134, v50, v51
	;; [unrolled: 1-line block ×9, first 2 shown]
	v_add_f32_e32 v62, v112, v71
	v_fmac_f32_e32 v58, 0x3f167918, v63
	v_fmac_f32_e32 v40, 0xbf167918, v63
	v_add_f32_e32 v63, v147, v103
	v_fmac_f32_e32 v57, 0xbf167918, v108
	v_fmac_f32_e32 v53, 0x3f167918, v108
	;; [unrolled: 1-line block ×4, first 2 shown]
	v_add_f32_e32 v71, v148, v104
	v_add_f32_e32 v108, v65, v105
	v_fmamk_f32 v105, v132, 0x3f737871, v99
	v_fmac_f32_e32 v99, 0xbf737871, v132
	v_fmamk_f32 v103, v133, 0xbf737871, v101
	v_fmac_f32_e32 v101, 0x3f737871, v133
	;; [unrolled: 2-line block ×4, first 2 shown]
	v_fmac_f32_e32 v56, 0x3f167918, v64
	v_fmac_f32_e32 v52, 0xbf167918, v64
	v_fmamk_f32 v64, v72, 0x3f737871, v54
	v_fmamk_f32 v65, v126, 0xbf737871, v55
	;; [unrolled: 1-line block ×3, first 2 shown]
	v_fmac_f32_e32 v42, 0x3f737871, v109
	v_fmamk_f32 v67, v127, 0x3f737871, v43
	v_fmac_f32_e32 v43, 0xbf737871, v127
	v_add_f32_e32 v73, v73, v130
	v_add_f32_e32 v128, v134, v135
	;; [unrolled: 1-line block ×5, first 2 shown]
	v_fmac_f32_e32 v54, 0xbf737871, v72
	v_fmac_f32_e32 v55, 0x3f737871, v126
	;; [unrolled: 1-line block ×34, first 2 shown]
	v_add_f32_e32 v68, v71, v123
	v_add_f32_e32 v69, v108, v107
	v_fmac_f32_e32 v64, 0x3e9e377a, v149
	v_fmac_f32_e32 v65, 0x3e9e377a, v110
	;; [unrolled: 1-line block ×8, first 2 shown]
	ds_write2_b64 v122, v[62:63], v[56:57] offset1:33
	ds_write2_b64 v122, v[58:59], v[40:41] offset0:66 offset1:99
	ds_write_b64 v122, v[52:53] offset:1056
	ds_write2_b64 v121, v[68:69], v[64:65] offset1:33
	ds_write2_b64 v121, v[66:67], v[42:43] offset0:66 offset1:99
	ds_write_b64 v121, v[54:55] offset:1056
	s_and_saveexec_b32 s1, vcc_lo
	s_cbranch_execz .LBB0_9
; %bb.8:
	v_add_f32_e32 v40, v61, v49
	v_add_f32_e32 v41, v60, v50
	v_lshlrev_b32_sdwa v42, v70, v115 dst_sel:DWORD dst_unused:UNUSED_PAD src0_sel:DWORD src1_sel:WORD_0
	v_add_f32_e32 v40, v40, v48
	v_add_f32_e32 v41, v41, v51
	;; [unrolled: 1-line block ×4, first 2 shown]
	v_add_nc_u32_e32 v45, 0x3000, v42
	v_add_f32_e32 v41, v40, v44
	v_add_f32_e32 v40, v43, v46
	ds_write2_b64 v45, v[103:104], v[101:102] offset0:180 offset1:213
	ds_write2_b64 v45, v[40:41], v[105:106] offset0:114 offset1:147
	ds_write_b64 v42, v[99:100] offset:14256
.LBB0_9:
	s_or_b32 exec_lo, exec_lo, s1
	v_mad_u64_u32 v[48:49], null, 0x50, v114, s[2:3]
	s_waitcnt lgkmcnt(0)
	s_barrier
	buffer_gl0_inv
	v_add_nc_u32_e32 v110, 0x1400, v113
	v_add_nc_u32_e32 v112, 0x1e00, v113
	;; [unrolled: 1-line block ×3, first 2 shown]
	s_clause 0x4
	global_load_dwordx4 v[56:59], v[48:49], off offset:1232
	global_load_dwordx4 v[52:55], v[48:49], off offset:1248
	;; [unrolled: 1-line block ×5, first 2 shown]
	ds_read2_b64 v[60:63], v113 offset1:165
	v_add_nc_u32_e32 v123, 0x2800, v113
	ds_read_b64 v[68:69], v113 offset:13200
	ds_read2_b64 v[64:67], v109 offset0:74 offset1:239
	ds_read2_b64 v[124:127], v110 offset0:20 offset1:185
	;; [unrolled: 1-line block ×4, first 2 shown]
	v_add_co_u32 v70, s1, 0x38b8, v74
	v_add_co_ci_u32_e64 v71, s1, 0, v75, s1
	v_add_co_u32 v72, s1, 0x3800, v74
	v_add_co_ci_u32_e64 v73, s1, 0, v75, s1
	;; [unrolled: 2-line block ×4, first 2 shown]
	s_waitcnt vmcnt(4) lgkmcnt(5)
	v_mul_f32_e32 v138, v63, v57
	v_mul_f32_e32 v139, v62, v57
	s_waitcnt lgkmcnt(3)
	v_mul_f32_e32 v140, v65, v59
	v_mul_f32_e32 v141, v64, v59
	s_waitcnt vmcnt(3)
	v_mul_f32_e32 v143, v66, v53
	s_waitcnt vmcnt(2) lgkmcnt(1)
	v_mul_f32_e32 v148, v129, v47
	s_waitcnt vmcnt(1)
	v_mul_f32_e32 v151, v130, v41
	s_waitcnt vmcnt(0) lgkmcnt(0)
	v_mul_f32_e32 v154, v135, v49
	v_mul_f32_e32 v156, v69, v51
	;; [unrolled: 1-line block ×3, first 2 shown]
	v_fma_f32 v62, v62, v56, -v138
	v_fmac_f32_e32 v139, v63, v56
	v_mul_f32_e32 v142, v67, v53
	v_mul_f32_e32 v144, v125, v55
	;; [unrolled: 1-line block ×10, first 2 shown]
	v_fma_f32 v63, v64, v58, -v140
	v_fmac_f32_e32 v141, v65, v58
	v_fmac_f32_e32 v143, v67, v52
	v_fma_f32 v67, v128, v46, -v148
	v_fmac_f32_e32 v151, v131, v40
	v_fma_f32 v128, v134, v48, -v154
	v_fma_f32 v131, v68, v50, -v156
	v_fmac_f32_e32 v157, v69, v50
	v_add_f32_e32 v68, v60, v62
	v_add_f32_e32 v69, v61, v139
	v_fma_f32 v64, v66, v52, -v142
	v_fma_f32 v65, v124, v54, -v144
	v_fmac_f32_e32 v145, v125, v54
	v_fma_f32 v66, v126, v44, -v146
	v_fmac_f32_e32 v147, v127, v44
	v_fmac_f32_e32 v149, v129, v46
	v_fma_f32 v124, v130, v40, -v150
	v_fma_f32 v125, v132, v42, -v152
	v_fmac_f32_e32 v153, v133, v42
	v_fmac_f32_e32 v155, v135, v48
	v_add_f32_e32 v126, v62, v131
	v_sub_f32_e32 v62, v62, v131
	v_sub_f32_e32 v129, v139, v157
	v_add_f32_e32 v130, v63, v128
	v_sub_f32_e32 v133, v63, v128
	v_add_f32_e32 v63, v68, v63
	v_add_f32_e32 v68, v69, v141
	;; [unrolled: 1-line block ×4, first 2 shown]
	v_sub_f32_e32 v134, v141, v155
	v_add_f32_e32 v135, v64, v125
	v_sub_f32_e32 v139, v64, v125
	v_sub_f32_e32 v140, v143, v153
	;; [unrolled: 1-line block ×6, first 2 shown]
	v_mul_f32_e32 v69, 0xbf0a6770, v129
	v_mul_f32_e32 v141, 0xbf0a6770, v62
	;; [unrolled: 1-line block ×9, first 2 shown]
	v_add_f32_e32 v63, v63, v64
	v_add_f32_e32 v64, v68, v143
	;; [unrolled: 1-line block ×7, first 2 shown]
	v_mul_f32_e32 v129, 0xbe903f40, v129
	v_mul_f32_e32 v164, 0xbf68dda4, v134
	v_mul_f32_e32 v165, 0xbf68dda4, v133
	v_mul_f32_e32 v166, 0xbf4178ce, v134
	v_mul_f32_e32 v167, 0xbf4178ce, v133
	v_mul_f32_e32 v168, 0x3e903f40, v134
	v_mul_f32_e32 v169, 0x3e903f40, v133
	v_mul_f32_e32 v170, 0x3f7d64f0, v134
	v_mul_f32_e32 v171, 0x3f7d64f0, v133
	v_mul_f32_e32 v134, 0x3f0a6770, v134
	v_mul_f32_e32 v133, 0x3f0a6770, v133
	v_mul_f32_e32 v172, 0xbf7d64f0, v140
	v_mul_f32_e32 v173, 0xbf7d64f0, v139
	v_mul_f32_e32 v174, 0x3e903f40, v140
	v_mul_f32_e32 v175, 0x3e903f40, v139
	v_mul_f32_e32 v176, 0x3f68dda4, v140
	v_mul_f32_e32 v177, 0x3f68dda4, v139
	v_mul_f32_e32 v178, 0xbf0a6770, v140
	v_mul_f32_e32 v179, 0xbf0a6770, v139
	v_mul_f32_e32 v140, 0xbf4178ce, v140
	v_mul_f32_e32 v139, 0xbf4178ce, v139
	v_mul_f32_e32 v180, 0xbf4178ce, v148
	v_mul_f32_e32 v181, 0xbf4178ce, v146
	v_mul_f32_e32 v182, 0x3f7d64f0, v148
	v_mul_f32_e32 v183, 0x3f7d64f0, v146
	v_mul_f32_e32 v184, 0xbf0a6770, v148
	v_mul_f32_e32 v185, 0xbf0a6770, v146
	v_mul_f32_e32 v186, 0xbe903f40, v148
	v_mul_f32_e32 v187, 0xbe903f40, v146
	v_mul_f32_e32 v148, 0x3f68dda4, v148
	v_mul_f32_e32 v146, 0x3f68dda4, v146
	v_mul_f32_e32 v188, 0xbe903f40, v156
	v_mul_f32_e32 v189, 0xbe903f40, v154
	v_mul_f32_e32 v190, 0x3f0a6770, v156
	v_mul_f32_e32 v191, 0x3f0a6770, v154
	v_mul_f32_e32 v192, 0xbf4178ce, v156
	v_mul_f32_e32 v193, 0x3f68dda4, v156
	v_mul_f32_e32 v156, 0xbf7d64f0, v156
	v_mul_f32_e32 v194, 0xbf4178ce, v154
	v_mul_f32_e32 v195, 0x3f68dda4, v154
	v_mul_f32_e32 v154, 0xbf7d64f0, v154
	v_fma_f32 v68, 0x3f575c64, v126, -v69
	v_fmamk_f32 v143, v127, 0x3f575c64, v141
	v_fmac_f32_e32 v69, 0x3f575c64, v126
	v_fma_f32 v141, 0x3f575c64, v127, -v141
	v_fma_f32 v196, 0x3ed4b147, v126, -v158
	v_fmamk_f32 v197, v127, 0x3ed4b147, v159
	v_fmac_f32_e32 v158, 0x3ed4b147, v126
	v_fma_f32 v159, 0x3ed4b147, v127, -v159
	;; [unrolled: 4-line block ×3, first 2 shown]
	v_fma_f32 v200, 0xbf27a4f4, v126, -v162
	v_fmamk_f32 v201, v127, 0xbf27a4f4, v163
	v_fma_f32 v163, 0xbf27a4f4, v127, -v163
	v_fmamk_f32 v203, v127, 0xbf75a155, v62
	v_fma_f32 v62, 0xbf75a155, v127, -v62
	v_add_f32_e32 v63, v63, v65
	v_add_f32_e32 v64, v64, v145
	v_fmac_f32_e32 v162, 0xbf27a4f4, v126
	v_fma_f32 v202, 0xbf75a155, v126, -v129
	v_fmac_f32_e32 v129, 0xbf75a155, v126
	v_fma_f32 v126, 0x3ed4b147, v130, -v164
	v_fmamk_f32 v127, v132, 0x3ed4b147, v165
	v_fmac_f32_e32 v164, 0x3ed4b147, v130
	v_fma_f32 v165, 0x3ed4b147, v132, -v165
	v_fma_f32 v204, 0xbf27a4f4, v130, -v166
	v_fmamk_f32 v205, v132, 0xbf27a4f4, v167
	v_fmac_f32_e32 v166, 0xbf27a4f4, v130
	v_fma_f32 v167, 0xbf27a4f4, v132, -v167
	;; [unrolled: 4-line block ×14, first 2 shown]
	v_fma_f32 v226, 0x3ed4b147, v142, -v148
	v_fmac_f32_e32 v148, 0x3ed4b147, v142
	v_fmamk_f32 v142, v144, 0x3ed4b147, v146
	v_fma_f32 v144, 0x3ed4b147, v144, -v146
	v_fma_f32 v146, 0xbf75a155, v150, -v188
	v_fmac_f32_e32 v188, 0xbf75a155, v150
	v_fma_f32 v227, 0x3f575c64, v150, -v190
	v_fmac_f32_e32 v190, 0x3f575c64, v150
	;; [unrolled: 2-line block ×5, first 2 shown]
	v_fmamk_f32 v150, v152, 0xbf75a155, v189
	v_fma_f32 v189, 0xbf75a155, v152, -v189
	v_fmamk_f32 v231, v152, 0x3f575c64, v191
	v_fma_f32 v191, 0x3f575c64, v152, -v191
	;; [unrolled: 2-line block ×5, first 2 shown]
	v_add_f32_e32 v68, v60, v68
	v_add_f32_e32 v143, v61, v143
	;; [unrolled: 1-line block ×112, first 2 shown]
	ds_write2_b64 v113, v[132:133], v[60:61] offset1:165
	ds_write2_b64 v109, v[64:65], v[68:69] offset0:74 offset1:239
	ds_write2_b64 v110, v[126:127], v[130:131] offset0:20 offset1:185
	;; [unrolled: 1-line block ×4, first 2 shown]
	ds_write_b64 v113, v[62:63] offset:13200
	s_waitcnt lgkmcnt(0)
	s_barrier
	buffer_gl0_inv
	s_clause 0x3
	global_load_dwordx2 v[64:65], v[72:73], off offset:184
	global_load_dwordx2 v[107:108], v[107:108], off offset:776
	;; [unrolled: 1-line block ×4, first 2 shown]
	v_add_co_u32 v60, s1, 0x5000, v74
	v_add_co_ci_u32_e64 v61, s1, 0, v75, s1
	v_add_co_u32 v62, s1, 0x5800, v74
	v_add_co_ci_u32_e64 v63, s1, 0, v75, s1
	;; [unrolled: 2-line block ×3, first 2 shown]
	s_clause 0x3
	global_load_dwordx2 v[126:127], v[136:137], off offset:1368
	global_load_dwordx2 v[128:129], v[60:61], off offset:640
	;; [unrolled: 1-line block ×4, first 2 shown]
	v_add_co_u32 v60, s1, 0x6800, v74
	v_add_co_ci_u32_e64 v61, s1, 0, v75, s1
	s_clause 0x2
	global_load_dwordx2 v[134:135], v[68:69], off offset:504
	global_load_dwordx2 v[136:137], v[68:69], off offset:1824
	;; [unrolled: 1-line block ×3, first 2 shown]
	ds_read2_b64 v[60:63], v113 offset1:165
	s_waitcnt vmcnt(10) lgkmcnt(0)
	v_mul_f32_e32 v69, v61, v65
	v_mul_f32_e32 v68, v60, v65
	s_waitcnt vmcnt(7)
	v_mul_f32_e32 v70, v63, v67
	v_mul_f32_e32 v65, v62, v67
	v_fma_f32 v67, v60, v64, -v69
	v_fmac_f32_e32 v68, v61, v64
	v_fma_f32 v64, v62, v66, -v70
	v_fmac_f32_e32 v65, v63, v66
	ds_write2_b64 v113, v[67:68], v[64:65] offset1:165
	ds_read2_b64 v[60:63], v109 offset0:74 offset1:239
	ds_read2_b64 v[64:67], v110 offset0:20 offset1:185
	;; [unrolled: 1-line block ×4, first 2 shown]
	ds_read_b64 v[140:141], v113 offset:13200
	s_waitcnt lgkmcnt(4)
	v_mul_f32_e32 v142, v61, v108
	v_mul_f32_e32 v143, v60, v108
	;; [unrolled: 1-line block ×4, first 2 shown]
	s_waitcnt vmcnt(6) lgkmcnt(3)
	v_mul_f32_e32 v145, v65, v127
	v_mul_f32_e32 v125, v64, v127
	s_waitcnt vmcnt(5)
	v_mul_f32_e32 v146, v67, v129
	v_mul_f32_e32 v127, v66, v129
	s_waitcnt vmcnt(4) lgkmcnt(2)
	v_mul_f32_e32 v147, v69, v131
	v_mul_f32_e32 v129, v68, v131
	s_waitcnt vmcnt(3)
	v_mul_f32_e32 v148, v71, v133
	v_mul_f32_e32 v131, v70, v133
	;; [unrolled: 6-line block ×3, first 2 shown]
	s_waitcnt vmcnt(0) lgkmcnt(0)
	v_mul_f32_e32 v151, v141, v139
	v_mul_f32_e32 v137, v140, v139
	v_fma_f32 v142, v60, v107, -v142
	v_fmac_f32_e32 v143, v61, v107
	v_fma_f32 v107, v62, v124, -v144
	v_fmac_f32_e32 v108, v63, v124
	v_fma_f32 v124, v64, v126, -v145
	v_fmac_f32_e32 v125, v65, v126
	v_fma_f32 v126, v66, v128, -v146
	v_fmac_f32_e32 v127, v67, v128
	v_fma_f32 v128, v68, v130, -v147
	v_fmac_f32_e32 v129, v69, v130
	v_fma_f32 v130, v70, v132, -v148
	v_fmac_f32_e32 v131, v71, v132
	v_fma_f32 v132, v72, v134, -v149
	v_fmac_f32_e32 v133, v73, v134
	v_fma_f32 v134, v74, v136, -v150
	v_fmac_f32_e32 v135, v75, v136
	v_fma_f32 v136, v140, v138, -v151
	v_fmac_f32_e32 v137, v141, v138
	ds_write2_b64 v109, v[142:143], v[107:108] offset0:74 offset1:239
	ds_write2_b64 v110, v[124:125], v[126:127] offset0:20 offset1:185
	;; [unrolled: 1-line block ×4, first 2 shown]
	ds_write_b64 v113, v[136:137] offset:13200
	s_waitcnt lgkmcnt(0)
	s_barrier
	buffer_gl0_inv
	ds_read2_b64 v[68:71], v113 offset1:165
	ds_read_b64 v[107:108], v113 offset:13200
	ds_read2_b64 v[124:127], v109 offset0:74 offset1:239
	ds_read2_b64 v[60:63], v123 offset0:40 offset1:205
	;; [unrolled: 1-line block ×4, first 2 shown]
	v_add_nc_u32_e32 v112, 0x1200, v113
	v_add_nc_u32_e32 v128, 0x2400, v113
	s_waitcnt lgkmcnt(0)
	s_barrier
	buffer_gl0_inv
	v_add_f32_e32 v109, v68, v70
	v_add_f32_e32 v110, v69, v71
	;; [unrolled: 1-line block ×3, first 2 shown]
	v_sub_f32_e32 v71, v71, v108
	v_add_f32_e32 v123, v107, v70
	v_add_f32_e32 v109, v109, v124
	;; [unrolled: 1-line block ×3, first 2 shown]
	v_sub_f32_e32 v70, v70, v107
	v_add_f32_e32 v130, v62, v124
	v_add_f32_e32 v131, v63, v125
	v_sub_f32_e32 v132, v124, v62
	v_sub_f32_e32 v133, v125, v63
	v_add_f32_e32 v135, v61, v127
	v_sub_f32_e32 v137, v127, v61
	v_add_f32_e32 v139, v67, v73
	;; [unrolled: 2-line block ×3, first 2 shown]
	v_sub_f32_e32 v145, v75, v65
	v_mul_f32_e32 v124, 0xbf0a6770, v71
	v_mul_f32_e32 v125, 0x3f575c64, v129
	;; [unrolled: 1-line block ×8, first 2 shown]
	v_add_f32_e32 v109, v109, v126
	v_add_f32_e32 v110, v110, v127
	v_mul_f32_e32 v151, 0xbf27a4f4, v129
	v_mul_f32_e32 v129, 0xbf75a155, v129
	v_add_f32_e32 v134, v60, v126
	v_sub_f32_e32 v136, v126, v60
	v_add_f32_e32 v138, v66, v72
	v_sub_f32_e32 v140, v72, v66
	;; [unrolled: 2-line block ×3, first 2 shown]
	v_mul_f32_e32 v152, 0xbf68dda4, v133
	v_mul_f32_e32 v153, 0x3ed4b147, v131
	;; [unrolled: 1-line block ×40, first 2 shown]
	v_fmamk_f32 v126, v123, 0x3f575c64, v124
	v_fmamk_f32 v127, v70, 0x3f0a6770, v125
	v_fma_f32 v124, 0x3f575c64, v123, -v124
	v_fmac_f32_e32 v125, 0xbf0a6770, v70
	v_fmamk_f32 v184, v123, 0x3ed4b147, v146
	v_fmamk_f32 v185, v70, 0x3f68dda4, v147
	v_fma_f32 v146, 0x3ed4b147, v123, -v146
	v_fmac_f32_e32 v147, 0xbf68dda4, v70
	;; [unrolled: 4-line block ×3, first 2 shown]
	v_fmamk_f32 v188, v123, 0xbf27a4f4, v150
	v_fma_f32 v150, 0xbf27a4f4, v123, -v150
	v_fmamk_f32 v190, v123, 0xbf75a155, v71
	v_fma_f32 v71, 0xbf75a155, v123, -v71
	v_add_f32_e32 v72, v109, v72
	v_add_f32_e32 v73, v110, v73
	v_fmamk_f32 v189, v70, 0x3f4178ce, v151
	v_fmac_f32_e32 v151, 0xbf4178ce, v70
	v_fmamk_f32 v191, v70, 0x3e903f40, v129
	v_fmac_f32_e32 v129, 0xbe903f40, v70
	v_fmamk_f32 v70, v130, 0x3ed4b147, v152
	v_fmamk_f32 v123, v132, 0x3f68dda4, v153
	v_fma_f32 v152, 0x3ed4b147, v130, -v152
	v_fmac_f32_e32 v153, 0xbf68dda4, v132
	v_fmamk_f32 v192, v130, 0xbf27a4f4, v154
	v_fmamk_f32 v193, v132, 0x3f4178ce, v155
	v_fma_f32 v154, 0xbf27a4f4, v130, -v154
	;; [unrolled: 4-line block ×20, first 2 shown]
	v_fmac_f32_e32 v143, 0xbf7d64f0, v144
	v_add_f32_e32 v126, v68, v126
	v_add_f32_e32 v127, v69, v127
	;; [unrolled: 1-line block ×110, first 2 shown]
	ds_write2_b64 v111, v[64:65], v[66:67] offset0:2 offset1:3
	v_add_f32_e32 v64, v125, v107
	v_add_f32_e32 v65, v126, v108
	ds_write2_b64 v111, v[70:71], v[123:124] offset0:4 offset1:5
	ds_write2_b64 v111, v[62:63], v[74:75] offset0:6 offset1:7
	;; [unrolled: 1-line block ×3, first 2 shown]
	ds_write_b64 v111, v[109:110] offset:80
	ds_write2_b64 v111, v[64:65], v[60:61] offset1:1
	s_waitcnt lgkmcnt(0)
	s_barrier
	buffer_gl0_inv
	ds_read2_b64 v[60:63], v113 offset1:165
	ds_read2_b64 v[68:71], v112 offset0:29 offset1:194
	ds_read2_b64 v[64:67], v128 offset0:58 offset1:223
	ds_read_b64 v[74:75], v113 offset:2640
	ds_read_b64 v[111:112], v113 offset:7480
	;; [unrolled: 1-line block ×3, first 2 shown]
	s_and_saveexec_b32 s1, s0
	s_cbranch_execz .LBB0_11
; %bb.10:
	ds_read_b64 v[72:73], v113 offset:3960
	ds_read_b64 v[109:110], v113 offset:8800
	;; [unrolled: 1-line block ×3, first 2 shown]
.LBB0_11:
	s_or_b32 exec_lo, exec_lo, s1
	s_waitcnt lgkmcnt(4)
	v_mul_f32_e32 v123, v21, v69
	v_mul_f32_e32 v21, v21, v68
	s_waitcnt lgkmcnt(3)
	v_mul_f32_e32 v124, v23, v65
	v_mul_f32_e32 v23, v23, v64
	s_waitcnt lgkmcnt(0)
	v_fmac_f32_e32 v123, v20, v68
	v_fma_f32 v20, v20, v69, -v21
	v_fmac_f32_e32 v124, v22, v64
	v_mul_f32_e32 v21, v17, v71
	v_fma_f32 v22, v22, v65, -v23
	v_mul_f32_e32 v17, v17, v70
	v_mul_f32_e32 v23, v19, v67
	;; [unrolled: 1-line block ×3, first 2 shown]
	v_fmac_f32_e32 v21, v16, v70
	v_mul_f32_e32 v64, v13, v112
	v_fma_f32 v65, v16, v71, -v17
	v_fmac_f32_e32 v23, v18, v66
	v_mul_f32_e32 v16, v13, v111
	v_mul_f32_e32 v66, v15, v108
	;; [unrolled: 1-line block ×5, first 2 shown]
	v_fma_f32 v19, v18, v67, -v19
	v_fmac_f32_e32 v64, v12, v111
	v_fma_f32 v67, v12, v112, -v16
	v_fmac_f32_e32 v66, v14, v107
	;; [unrolled: 2-line block ×3, first 2 shown]
	v_add_f32_e32 v12, v123, v124
	v_fma_f32 v9, v8, v110, -v9
	v_mul_f32_e32 v8, v11, v106
	v_mul_f32_e32 v14, v11, v105
	v_add_f32_e32 v15, v60, v123
	v_fma_f32 v11, -0.5, v12, v60
	v_sub_f32_e32 v12, v20, v22
	v_fmac_f32_e32 v8, v10, v105
	v_fma_f32 v10, v10, v106, -v14
	v_add_f32_e32 v14, v15, v124
	v_add_f32_e32 v15, v20, v22
	;; [unrolled: 1-line block ×4, first 2 shown]
	v_fmamk_f32 v16, v12, 0xbf5db3d7, v11
	v_fmac_f32_e32 v11, 0x3f5db3d7, v12
	v_fma_f32 v12, -0.5, v15, v61
	v_sub_f32_e32 v20, v123, v124
	v_add_f32_e32 v15, v17, v22
	v_add_f32_e32 v22, v62, v21
	v_fma_f32 v62, -0.5, v18, v62
	v_sub_f32_e32 v60, v65, v19
	v_fmamk_f32 v17, v20, 0x3f5db3d7, v12
	v_fmac_f32_e32 v12, 0xbf5db3d7, v20
	v_add_f32_e32 v18, v22, v23
	v_add_f32_e32 v22, v65, v19
	v_fmamk_f32 v20, v60, 0xbf5db3d7, v62
	v_add_f32_e32 v61, v63, v65
	v_fmac_f32_e32 v62, 0x3f5db3d7, v60
	v_add_f32_e32 v60, v64, v66
	v_fmac_f32_e32 v63, -0.5, v22
	v_sub_f32_e32 v22, v21, v23
	v_add_f32_e32 v19, v61, v19
	v_add_f32_e32 v23, v74, v64
	v_fma_f32 v74, -0.5, v60, v74
	v_sub_f32_e32 v61, v67, v68
	v_fmamk_f32 v21, v22, 0x3f5db3d7, v63
	v_fmac_f32_e32 v63, 0xbf5db3d7, v22
	v_add_f32_e32 v22, v23, v66
	v_add_f32_e32 v23, v75, v67
	v_fmamk_f32 v60, v61, 0xbf5db3d7, v74
	v_add_f32_e32 v65, v67, v68
	v_fmac_f32_e32 v74, 0x3f5db3d7, v61
	v_add_f32_e32 v61, v13, v8
	v_add_f32_e32 v67, v9, v10
	;; [unrolled: 1-line block ×3, first 2 shown]
	v_fmac_f32_e32 v75, -0.5, v65
	v_sub_f32_e32 v64, v64, v66
	v_fma_f32 v66, -0.5, v61, v72
	v_sub_f32_e32 v65, v9, v10
	v_fma_f32 v67, -0.5, v67, v73
	v_sub_f32_e32 v68, v13, v8
	v_fmamk_f32 v61, v64, 0x3f5db3d7, v75
	v_fmac_f32_e32 v75, 0xbf5db3d7, v64
	v_fmamk_f32 v64, v65, 0xbf5db3d7, v66
	v_fmac_f32_e32 v66, 0x3f5db3d7, v65
	;; [unrolled: 2-line block ×3, first 2 shown]
	s_barrier
	buffer_gl0_inv
	ds_write2_b64 v120, v[14:15], v[16:17] offset1:11
	ds_write_b64 v120, v[11:12] offset:176
	ds_write2_b64 v119, v[18:19], v[20:21] offset1:11
	ds_write_b64 v119, v[62:63] offset:176
	;; [unrolled: 2-line block ×3, first 2 shown]
	s_and_saveexec_b32 s1, s0
	s_cbranch_execz .LBB0_13
; %bb.12:
	v_add_f32_e32 v9, v73, v9
	v_add_f32_e32 v11, v72, v13
	v_mad_u16 v12, v116, 33, v117
	v_mov_b32_e32 v13, 3
	v_add_f32_e32 v9, v9, v10
	v_add_f32_e32 v8, v11, v8
	v_lshlrev_b32_sdwa v10, v13, v12 dst_sel:DWORD dst_unused:UNUSED_PAD src0_sel:DWORD src1_sel:WORD_0
	ds_write2_b64 v10, v[8:9], v[64:65] offset1:11
	ds_write_b64 v10, v[66:67] offset:176
.LBB0_13:
	s_or_b32 exec_lo, exec_lo, s1
	v_add_nc_u32_e32 v12, 0xa00, v113
	v_add_nc_u32_e32 v13, 0x1400, v113
	;; [unrolled: 1-line block ×4, first 2 shown]
	s_waitcnt lgkmcnt(0)
	s_barrier
	buffer_gl0_inv
	ds_read2_b64 v[8:11], v113 offset1:165
	ds_read2_b64 v[60:63], v12 offset0:43 offset1:208
	ds_read2_b64 v[20:23], v13 offset0:86 offset1:251
	ds_read2_b64 v[16:19], v14 offset0:65 offset1:230
	ds_read2_b64 v[12:15], v15 offset0:44 offset1:209
	s_and_saveexec_b32 s0, vcc_lo
	s_cbranch_execz .LBB0_15
; %bb.14:
	ds_read_b64 v[64:65], v113 offset:2640
	ds_read_b64 v[66:67], v113 offset:5544
	;; [unrolled: 1-line block ×5, first 2 shown]
.LBB0_15:
	s_or_b32 exec_lo, exec_lo, s0
	s_waitcnt lgkmcnt(3)
	v_mul_f32_e32 v68, v37, v61
	v_mul_f32_e32 v37, v37, v60
	s_waitcnt lgkmcnt(2)
	v_mul_f32_e32 v69, v39, v21
	v_mul_f32_e32 v39, v39, v20
	s_waitcnt lgkmcnt(0)
	v_fmac_f32_e32 v68, v36, v60
	v_fma_f32 v36, v36, v61, -v37
	v_mul_f32_e32 v37, v29, v17
	v_mul_f32_e32 v60, v31, v13
	v_mul_f32_e32 v29, v29, v16
	v_fmac_f32_e32 v69, v38, v20
	v_fma_f32 v20, v38, v21, -v39
	v_fmac_f32_e32 v37, v28, v16
	v_fmac_f32_e32 v60, v30, v12
	v_mul_f32_e32 v12, v31, v12
	v_mul_f32_e32 v16, v33, v62
	v_fma_f32 v21, v28, v17, -v29
	v_mul_f32_e32 v28, v33, v63
	v_mul_f32_e32 v17, v35, v22
	v_fma_f32 v30, v30, v13, -v12
	v_fma_f32 v31, v32, v63, -v16
	v_add_f32_e32 v12, v69, v37
	v_mul_f32_e32 v13, v25, v18
	v_add_f32_e32 v16, v8, v68
	v_mul_f32_e32 v29, v35, v23
	v_fmac_f32_e32 v28, v32, v62
	v_fma_f32 v32, v34, v23, -v17
	v_mul_f32_e32 v33, v25, v19
	v_mul_f32_e32 v23, v27, v15
	v_fma_f32 v12, -0.5, v12, v8
	v_sub_f32_e32 v17, v36, v30
	v_fma_f32 v25, v24, v19, -v13
	v_add_f32_e32 v13, v16, v69
	v_fmac_f32_e32 v29, v34, v22
	v_fmac_f32_e32 v33, v24, v18
	;; [unrolled: 1-line block ×3, first 2 shown]
	v_fmamk_f32 v16, v17, 0xbf737871, v12
	v_sub_f32_e32 v19, v20, v21
	v_sub_f32_e32 v18, v68, v69
	;; [unrolled: 1-line block ×3, first 2 shown]
	v_add_f32_e32 v24, v68, v60
	v_mul_f32_e32 v14, v27, v14
	v_add_f32_e32 v13, v13, v37
	v_fmac_f32_e32 v12, 0x3f737871, v17
	v_fmac_f32_e32 v16, 0xbf167918, v19
	v_add_f32_e32 v22, v18, v22
	v_fma_f32 v8, -0.5, v24, v8
	v_fma_f32 v34, v26, v15, -v14
	v_add_f32_e32 v14, v13, v60
	v_sub_f32_e32 v13, v69, v68
	v_sub_f32_e32 v15, v37, v60
	v_fmac_f32_e32 v12, 0x3f167918, v19
	v_add_f32_e32 v24, v9, v36
	v_add_f32_e32 v26, v20, v21
	v_fmac_f32_e32 v16, 0x3e9e377a, v22
	v_fmamk_f32 v18, v19, 0x3f737871, v8
	v_add_f32_e32 v15, v13, v15
	v_fmac_f32_e32 v8, 0xbf737871, v19
	v_add_f32_e32 v19, v24, v20
	v_fma_f32 v13, -0.5, v26, v9
	v_sub_f32_e32 v24, v68, v60
	v_fmac_f32_e32 v12, 0x3e9e377a, v22
	v_add_f32_e32 v22, v36, v30
	v_sub_f32_e32 v27, v36, v20
	v_sub_f32_e32 v35, v30, v21
	v_fmac_f32_e32 v18, 0xbf167918, v17
	v_fmac_f32_e32 v8, 0x3f167918, v17
	v_add_f32_e32 v19, v19, v21
	v_fmamk_f32 v17, v24, 0x3f737871, v13
	v_sub_f32_e32 v26, v69, v37
	v_fma_f32 v9, -0.5, v22, v9
	v_add_f32_e32 v22, v27, v35
	v_fmac_f32_e32 v13, 0xbf737871, v24
	v_sub_f32_e32 v20, v20, v36
	v_sub_f32_e32 v21, v21, v30
	v_add_f32_e32 v27, v29, v33
	v_fmac_f32_e32 v18, 0x3e9e377a, v15
	v_fmac_f32_e32 v8, 0x3e9e377a, v15
	v_add_f32_e32 v15, v19, v30
	v_fmac_f32_e32 v17, 0x3f167918, v26
	v_fmamk_f32 v19, v26, 0xbf737871, v9
	v_fmac_f32_e32 v13, 0xbf167918, v26
	v_add_f32_e32 v21, v20, v21
	v_fmac_f32_e32 v9, 0x3f737871, v26
	v_add_f32_e32 v26, v10, v28
	v_fma_f32 v20, -0.5, v27, v10
	v_sub_f32_e32 v27, v31, v34
	v_fmac_f32_e32 v17, 0x3e9e377a, v22
	v_fmac_f32_e32 v19, 0x3f167918, v24
	;; [unrolled: 1-line block ×4, first 2 shown]
	v_add_f32_e32 v24, v26, v29
	v_fmamk_f32 v22, v27, 0xbf737871, v20
	v_sub_f32_e32 v30, v32, v25
	v_sub_f32_e32 v26, v28, v29
	;; [unrolled: 1-line block ×3, first 2 shown]
	v_fmac_f32_e32 v20, 0x3f737871, v27
	v_add_f32_e32 v36, v28, v23
	v_fmac_f32_e32 v22, 0xbf167918, v30
	v_fmac_f32_e32 v19, 0x3e9e377a, v21
	v_add_f32_e32 v26, v26, v35
	v_fmac_f32_e32 v20, 0x3f167918, v30
	v_fma_f32 v10, -0.5, v36, v10
	v_fmac_f32_e32 v9, 0x3e9e377a, v21
	v_add_f32_e32 v21, v32, v25
	v_fmac_f32_e32 v22, 0x3e9e377a, v26
	v_fmac_f32_e32 v20, 0x3e9e377a, v26
	v_fmamk_f32 v26, v30, 0x3f737871, v10
	v_fmac_f32_e32 v10, 0xbf737871, v30
	v_add_f32_e32 v30, v11, v31
	v_sub_f32_e32 v35, v29, v28
	v_sub_f32_e32 v36, v33, v23
	v_fmac_f32_e32 v26, 0xbf167918, v27
	v_fmac_f32_e32 v10, 0x3f167918, v27
	v_add_f32_e32 v27, v30, v32
	v_add_f32_e32 v30, v31, v34
	;; [unrolled: 1-line block ×3, first 2 shown]
	v_fma_f32 v21, -0.5, v21, v11
	v_sub_f32_e32 v28, v28, v23
	v_add_f32_e32 v35, v35, v36
	v_sub_f32_e32 v29, v29, v33
	v_fmac_f32_e32 v11, -0.5, v30
	v_add_f32_e32 v24, v24, v23
	v_fmamk_f32 v23, v28, 0x3f737871, v21
	v_fmac_f32_e32 v26, 0x3e9e377a, v35
	v_fmac_f32_e32 v10, 0x3e9e377a, v35
	v_sub_f32_e32 v30, v31, v32
	v_sub_f32_e32 v35, v34, v25
	v_add_f32_e32 v33, v27, v25
	v_fmac_f32_e32 v21, 0xbf737871, v28
	v_fmamk_f32 v27, v29, 0xbf737871, v11
	v_sub_f32_e32 v31, v32, v31
	v_sub_f32_e32 v25, v25, v34
	v_fmac_f32_e32 v11, 0x3f737871, v29
	v_fmac_f32_e32 v23, 0x3f167918, v29
	v_add_f32_e32 v30, v30, v35
	v_fmac_f32_e32 v21, 0xbf167918, v29
	v_fmac_f32_e32 v27, 0x3f167918, v28
	v_add_f32_e32 v29, v31, v25
	v_fmac_f32_e32 v11, 0xbf167918, v28
	v_add_f32_e32 v25, v33, v34
	v_fmac_f32_e32 v23, 0x3e9e377a, v30
	v_fmac_f32_e32 v21, 0x3e9e377a, v30
	;; [unrolled: 1-line block ×4, first 2 shown]
	s_barrier
	buffer_gl0_inv
	ds_write2_b64 v122, v[14:15], v[16:17] offset1:33
	ds_write2_b64 v122, v[18:19], v[8:9] offset0:66 offset1:99
	ds_write_b64 v122, v[12:13] offset:1056
	ds_write2_b64 v121, v[24:25], v[22:23] offset1:33
	ds_write2_b64 v121, v[26:27], v[10:11] offset0:66 offset1:99
	ds_write_b64 v121, v[20:21] offset:1056
	s_and_saveexec_b32 s0, vcc_lo
	s_cbranch_execz .LBB0_17
; %bb.16:
	v_mul_f32_e32 v8, v5, v66
	v_mul_f32_e32 v9, v3, v99
	;; [unrolled: 1-line block ×6, first 2 shown]
	v_fma_f32 v8, v4, v67, -v8
	v_fma_f32 v9, v2, v100, -v9
	v_fma_f32 v10, v6, v104, -v10
	v_mul_f32_e32 v14, v3, v100
	v_fma_f32 v15, v0, v102, -v1
	v_fmac_f32_e32 v11, v6, v103
	v_fmac_f32_e32 v12, v0, v101
	v_add_f32_e32 v6, v8, v9
	v_mul_f32_e32 v13, v5, v67
	v_fmac_f32_e32 v14, v2, v99
	v_sub_f32_e32 v0, v10, v8
	v_sub_f32_e32 v2, v15, v9
	;; [unrolled: 1-line block ×3, first 2 shown]
	v_fma_f32 v1, -0.5, v6, v65
	v_fmac_f32_e32 v13, v4, v66
	v_add_f32_e32 v5, v10, v15
	v_add_f32_e32 v0, v0, v2
	v_sub_f32_e32 v2, v8, v10
	v_sub_f32_e32 v6, v9, v15
	v_fmamk_f32 v3, v16, 0x3f737871, v1
	v_sub_f32_e32 v4, v13, v14
	v_fmac_f32_e32 v1, 0xbf737871, v16
	v_fma_f32 v5, -0.5, v5, v65
	v_add_f32_e32 v6, v2, v6
	v_add_f32_e32 v2, v65, v8
	v_fmac_f32_e32 v3, 0xbf167918, v4
	v_fmac_f32_e32 v1, 0x3f167918, v4
	v_fmamk_f32 v7, v4, 0xbf737871, v5
	v_fmac_f32_e32 v5, 0x3f737871, v4
	v_add_f32_e32 v4, v2, v10
	v_sub_f32_e32 v17, v10, v15
	v_fmac_f32_e32 v3, 0x3e9e377a, v0
	v_fmac_f32_e32 v1, 0x3e9e377a, v0
	v_add_f32_e32 v0, v13, v14
	v_add_f32_e32 v4, v4, v15
	;; [unrolled: 1-line block ×3, first 2 shown]
	v_fmac_f32_e32 v7, 0xbf167918, v16
	v_sub_f32_e32 v8, v8, v9
	v_fmac_f32_e32 v5, 0x3f167918, v16
	v_add_f32_e32 v9, v4, v9
	v_fma_f32 v4, -0.5, v15, v64
	v_add_f32_e32 v15, v64, v13
	v_fma_f32 v0, -0.5, v0, v64
	v_sub_f32_e32 v10, v11, v13
	v_fmac_f32_e32 v7, 0x3e9e377a, v6
	v_fmac_f32_e32 v5, 0x3e9e377a, v6
	v_sub_f32_e32 v13, v13, v11
	v_sub_f32_e32 v16, v14, v12
	v_fmamk_f32 v6, v8, 0x3f737871, v4
	v_fmac_f32_e32 v4, 0xbf737871, v8
	v_add_f32_e32 v11, v15, v11
	v_mov_b32_e32 v15, 3
	v_sub_f32_e32 v18, v12, v14
	v_fmamk_f32 v2, v17, 0xbf737871, v0
	v_fmac_f32_e32 v0, 0x3f737871, v17
	v_add_f32_e32 v13, v13, v16
	v_fmac_f32_e32 v4, 0xbf167918, v17
	v_add_f32_e32 v11, v11, v12
	v_lshlrev_b32_sdwa v12, v15, v115 dst_sel:DWORD dst_unused:UNUSED_PAD src0_sel:DWORD src1_sel:WORD_0
	v_add_f32_e32 v10, v10, v18
	v_fmac_f32_e32 v2, 0x3f167918, v8
	v_fmac_f32_e32 v0, 0xbf167918, v8
	;; [unrolled: 1-line block ×4, first 2 shown]
	v_add_f32_e32 v8, v11, v14
	v_add_nc_u32_e32 v11, 0x3000, v12
	v_fmac_f32_e32 v2, 0x3e9e377a, v10
	v_fmac_f32_e32 v0, 0x3e9e377a, v10
	;; [unrolled: 1-line block ×3, first 2 shown]
	ds_write2_b64 v11, v[8:9], v[4:5] offset0:114 offset1:147
	ds_write2_b64 v11, v[0:1], v[2:3] offset0:180 offset1:213
	ds_write_b64 v12, v[6:7] offset:14256
.LBB0_17:
	s_or_b32 exec_lo, exec_lo, s0
	s_waitcnt lgkmcnt(0)
	s_barrier
	buffer_gl0_inv
	ds_read2_b64 v[4:7], v113 offset1:165
	v_add_nc_u32_e32 v3, 0x800, v113
	v_add_nc_u32_e32 v2, 0x1400, v113
	ds_read2_b64 v[8:11], v3 offset0:74 offset1:239
	ds_read2_b64 v[12:15], v2 offset0:20 offset1:185
	v_add_nc_u32_e32 v1, 0x1e00, v113
	v_add_nc_u32_e32 v0, 0x2800, v113
	ds_read2_b64 v[16:19], v1 offset0:30 offset1:195
	ds_read_b64 v[24:25], v113 offset:13200
	ds_read2_b64 v[20:23], v0 offset0:40 offset1:205
	s_mov_b32 s0, 0x953a4099
	s_mov_b32 s1, 0x3f420dd2
	s_mul_i32 s2, s9, 0x528
	s_mul_hi_u32 s3, s8, 0x528
	s_add_i32 s2, s3, s2
	s_mul_i32 s3, s8, 0x528
	s_waitcnt lgkmcnt(5)
	v_mul_f32_e32 v26, v57, v7
	v_mul_f32_e32 v27, v57, v6
	v_fmac_f32_e32 v26, v56, v6
	v_fma_f32 v6, v56, v7, -v27
	s_waitcnt lgkmcnt(4)
	v_mul_f32_e32 v27, v59, v9
	v_mul_f32_e32 v7, v59, v8
	s_waitcnt lgkmcnt(3)
	v_mul_f32_e32 v30, v55, v13
	v_mul_f32_e32 v28, v53, v11
	;; [unrolled: 1-line block ×4, first 2 shown]
	v_fmac_f32_e32 v27, v58, v8
	v_fma_f32 v8, v58, v9, -v7
	v_fmac_f32_e32 v30, v54, v12
	v_add_f32_e32 v7, v4, v26
	v_add_f32_e32 v12, v5, v6
	v_mul_f32_e32 v32, v45, v15
	v_fmac_f32_e32 v28, v52, v10
	v_fma_f32 v9, v52, v11, -v29
	v_add_f32_e32 v7, v7, v27
	v_add_f32_e32 v12, v12, v8
	v_mul_f32_e32 v33, v45, v14
	v_fma_f32 v10, v54, v13, -v31
	v_fmac_f32_e32 v32, v44, v14
	s_waitcnt lgkmcnt(2)
	v_mul_f32_e32 v14, v47, v16
	v_add_f32_e32 v7, v7, v28
	v_add_f32_e32 v12, v12, v9
	v_mul_f32_e32 v11, v47, v17
	v_fma_f32 v13, v44, v15, -v33
	v_mul_f32_e32 v15, v41, v19
	v_fma_f32 v14, v46, v17, -v14
	s_waitcnt lgkmcnt(0)
	v_mul_f32_e32 v17, v43, v21
	v_add_f32_e32 v7, v7, v30
	v_add_f32_e32 v12, v12, v10
	v_fmac_f32_e32 v11, v46, v16
	v_mul_f32_e32 v16, v41, v18
	v_fmac_f32_e32 v15, v40, v18
	v_mul_f32_e32 v18, v43, v20
	v_fmac_f32_e32 v17, v42, v20
	v_add_f32_e32 v7, v7, v32
	v_add_f32_e32 v12, v12, v13
	v_mul_f32_e32 v20, v51, v24
	v_fma_f32 v16, v40, v19, -v16
	v_mul_f32_e32 v19, v49, v23
	v_fma_f32 v18, v42, v21, -v18
	v_add_f32_e32 v7, v7, v11
	v_add_f32_e32 v12, v12, v14
	v_mul_f32_e32 v21, v51, v25
	v_fma_f32 v20, v50, v25, -v20
	v_fmac_f32_e32 v19, v48, v22
	v_mul_f32_e32 v22, v49, v22
	v_add_f32_e32 v7, v7, v15
	v_add_f32_e32 v12, v12, v16
	v_fmac_f32_e32 v21, v50, v24
	v_sub_f32_e32 v24, v6, v20
	v_fma_f32 v22, v48, v23, -v22
	v_add_f32_e32 v7, v7, v17
	v_add_f32_e32 v12, v12, v18
	;; [unrolled: 1-line block ×3, first 2 shown]
	v_mul_f32_e32 v25, 0xbf0a6770, v24
	v_add_f32_e32 v29, v6, v20
	v_add_f32_e32 v6, v7, v19
	;; [unrolled: 1-line block ×3, first 2 shown]
	v_sub_f32_e32 v12, v26, v21
	v_fmamk_f32 v26, v23, 0x3f575c64, v25
	v_mul_f32_e32 v31, 0x3f575c64, v29
	v_mul_f32_e32 v33, 0x3ed4b147, v29
	v_add_f32_e32 v7, v7, v20
	v_mul_f32_e32 v36, 0xbf7d64f0, v24
	v_add_f32_e32 v20, v4, v26
	v_mul_f32_e32 v26, 0xbf68dda4, v24
	v_mul_f32_e32 v38, 0xbe11bafb, v29
	;; [unrolled: 1-line block ×6, first 2 shown]
	v_sub_f32_e32 v46, v8, v22
	v_add_f32_e32 v8, v8, v22
	v_add_f32_e32 v6, v6, v21
	v_fmamk_f32 v21, v12, 0x3f0a6770, v31
	v_fma_f32 v25, 0x3f575c64, v23, -v25
	v_fmac_f32_e32 v31, 0xbf0a6770, v12
	v_fmamk_f32 v34, v23, 0x3ed4b147, v26
	v_fmamk_f32 v35, v12, 0x3f68dda4, v33
	v_fma_f32 v26, 0x3ed4b147, v23, -v26
	v_fmac_f32_e32 v33, 0xbf68dda4, v12
	v_fmamk_f32 v37, v23, 0xbe11bafb, v36
	;; [unrolled: 4-line block ×4, first 2 shown]
	v_fmamk_f32 v45, v12, 0x3e903f40, v29
	v_add_f32_e32 v47, v27, v19
	v_mul_f32_e32 v22, 0xbf68dda4, v46
	v_fma_f32 v23, 0xbf75a155, v23, -v24
	v_fmac_f32_e32 v29, 0xbe903f40, v12
	v_sub_f32_e32 v12, v27, v19
	v_mul_f32_e32 v19, 0x3ed4b147, v8
	v_add_f32_e32 v21, v5, v21
	v_add_f32_e32 v25, v4, v25
	v_add_f32_e32 v34, v4, v34
	v_add_f32_e32 v26, v4, v26
	v_add_f32_e32 v37, v4, v37
	v_add_f32_e32 v36, v4, v36
	v_add_f32_e32 v41, v4, v41
	v_add_f32_e32 v39, v4, v39
	v_add_f32_e32 v44, v4, v44
	v_fmamk_f32 v24, v47, 0x3ed4b147, v22
	v_add_f32_e32 v4, v4, v23
	v_mul_f32_e32 v23, 0xbf4178ce, v46
	v_fmamk_f32 v27, v12, 0x3f68dda4, v19
	v_fma_f32 v22, 0x3ed4b147, v47, -v22
	v_add_f32_e32 v31, v5, v31
	v_add_f32_e32 v20, v24, v20
	v_fmac_f32_e32 v19, 0xbf68dda4, v12
	v_fmamk_f32 v24, v47, 0xbf27a4f4, v23
	v_add_f32_e32 v21, v27, v21
	v_mul_f32_e32 v27, 0xbf27a4f4, v8
	v_add_f32_e32 v22, v22, v25
	v_mul_f32_e32 v25, 0x3e903f40, v46
	v_add_f32_e32 v35, v5, v35
	v_add_f32_e32 v33, v5, v33
	;; [unrolled: 1-line block ×10, first 2 shown]
	v_fmamk_f32 v29, v12, 0x3f4178ce, v27
	v_fma_f32 v23, 0xbf27a4f4, v47, -v23
	v_fmac_f32_e32 v27, 0xbf4178ce, v12
	v_mul_f32_e32 v31, 0xbf75a155, v8
	v_fmamk_f32 v34, v47, 0xbf75a155, v25
	v_fma_f32 v25, 0xbf75a155, v47, -v25
	v_add_f32_e32 v23, v23, v26
	v_add_f32_e32 v26, v27, v33
	v_fmamk_f32 v27, v12, 0xbe903f40, v31
	v_add_f32_e32 v33, v34, v37
	v_mul_f32_e32 v34, 0x3f7d64f0, v46
	v_add_f32_e32 v25, v25, v36
	v_mul_f32_e32 v36, 0x3f0a6770, v46
	v_add_f32_e32 v29, v29, v35
	v_fmac_f32_e32 v31, 0x3e903f40, v12
	v_add_f32_e32 v27, v27, v40
	v_mul_f32_e32 v35, 0xbe11bafb, v8
	v_fmamk_f32 v37, v47, 0xbe11bafb, v34
	v_fma_f32 v34, 0xbe11bafb, v47, -v34
	v_fmamk_f32 v40, v47, 0x3f575c64, v36
	v_add_f32_e32 v31, v31, v38
	v_fmamk_f32 v38, v12, 0xbf7d64f0, v35
	v_fmac_f32_e32 v35, 0x3f7d64f0, v12
	v_mul_f32_e32 v8, 0x3f575c64, v8
	v_add_f32_e32 v34, v34, v39
	v_add_f32_e32 v39, v40, v44
	v_sub_f32_e32 v40, v9, v18
	v_add_f32_e32 v9, v9, v18
	v_add_f32_e32 v37, v37, v41
	;; [unrolled: 1-line block ×3, first 2 shown]
	v_fmamk_f32 v41, v12, 0xbf0a6770, v8
	v_fma_f32 v36, 0x3f575c64, v47, -v36
	v_add_f32_e32 v18, v28, v17
	v_mul_f32_e32 v42, 0xbf7d64f0, v40
	v_fmac_f32_e32 v8, 0x3f0a6770, v12
	v_sub_f32_e32 v12, v28, v17
	v_mul_f32_e32 v17, 0xbe11bafb, v9
	v_add_f32_e32 v28, v41, v45
	v_fmamk_f32 v41, v18, 0xbe11bafb, v42
	v_add_f32_e32 v4, v36, v4
	v_add_f32_e32 v5, v8, v5
	v_fmamk_f32 v8, v12, 0x3f7d64f0, v17
	v_mul_f32_e32 v36, 0x3e903f40, v40
	v_fmac_f32_e32 v17, 0xbf7d64f0, v12
	v_add_f32_e32 v20, v41, v20
	v_fma_f32 v41, 0xbe11bafb, v18, -v42
	v_add_f32_e32 v8, v8, v21
	v_fmamk_f32 v21, v18, 0xbf75a155, v36
	v_mul_f32_e32 v42, 0xbf75a155, v9
	v_add_f32_e32 v17, v17, v19
	v_mul_f32_e32 v19, 0x3f68dda4, v40
	v_add_f32_e32 v38, v38, v43
	v_add_f32_e32 v22, v41, v22
	;; [unrolled: 1-line block ×3, first 2 shown]
	v_fmamk_f32 v24, v12, 0xbe903f40, v42
	v_fma_f32 v36, 0xbf75a155, v18, -v36
	v_fmamk_f32 v41, v18, 0x3ed4b147, v19
	v_mul_f32_e32 v43, 0x3ed4b147, v9
	v_fma_f32 v19, 0x3ed4b147, v18, -v19
	v_add_f32_e32 v24, v24, v29
	v_add_f32_e32 v23, v36, v23
	;; [unrolled: 1-line block ×3, first 2 shown]
	v_fmamk_f32 v33, v12, 0xbf68dda4, v43
	v_mul_f32_e32 v36, 0xbf0a6770, v40
	v_mul_f32_e32 v40, 0xbf4178ce, v40
	v_fmac_f32_e32 v43, 0x3f68dda4, v12
	v_mul_f32_e32 v41, 0x3f575c64, v9
	v_add_f32_e32 v27, v33, v27
	v_fmamk_f32 v33, v18, 0x3f575c64, v36
	v_fma_f32 v36, 0x3f575c64, v18, -v36
	v_add_f32_e32 v19, v19, v25
	v_add_f32_e32 v25, v43, v31
	v_fmamk_f32 v31, v12, 0x3f0a6770, v41
	v_add_f32_e32 v33, v33, v37
	v_fmamk_f32 v37, v18, 0xbf27a4f4, v40
	v_add_f32_e32 v34, v36, v34
	v_sub_f32_e32 v36, v10, v16
	v_mul_f32_e32 v9, 0xbf27a4f4, v9
	v_add_f32_e32 v10, v10, v16
	v_add_f32_e32 v37, v37, v39
	;; [unrolled: 1-line block ×3, first 2 shown]
	v_mul_f32_e32 v16, 0xbf4178ce, v36
	v_fmac_f32_e32 v42, 0x3e903f40, v12
	v_fmac_f32_e32 v41, 0xbf0a6770, v12
	v_add_f32_e32 v31, v31, v38
	v_fmamk_f32 v38, v12, 0x3f4178ce, v9
	v_fma_f32 v18, 0xbf27a4f4, v18, -v40
	v_fmac_f32_e32 v9, 0xbf4178ce, v12
	v_sub_f32_e32 v12, v30, v15
	v_mul_f32_e32 v15, 0xbf27a4f4, v10
	v_fmamk_f32 v30, v39, 0xbf27a4f4, v16
	v_add_f32_e32 v4, v18, v4
	v_add_f32_e32 v5, v9, v5
	v_fma_f32 v16, 0xbf27a4f4, v39, -v16
	v_fmamk_f32 v9, v12, 0x3f4178ce, v15
	v_add_f32_e32 v18, v30, v20
	v_mul_f32_e32 v20, 0x3f7d64f0, v36
	v_fmac_f32_e32 v15, 0xbf4178ce, v12
	v_add_f32_e32 v26, v42, v26
	v_add_f32_e32 v8, v9, v8
	v_mul_f32_e32 v9, 0xbe11bafb, v10
	v_fmamk_f32 v30, v39, 0xbe11bafb, v20
	v_add_f32_e32 v15, v15, v17
	v_mul_f32_e32 v17, 0xbf0a6770, v36
	v_add_f32_e32 v16, v16, v22
	v_fmamk_f32 v22, v12, 0xbf7d64f0, v9
	v_add_f32_e32 v21, v30, v21
	v_fma_f32 v20, 0xbe11bafb, v39, -v20
	v_fmac_f32_e32 v9, 0x3f7d64f0, v12
	v_fmamk_f32 v30, v39, 0x3f575c64, v17
	v_add_f32_e32 v22, v22, v24
	v_mul_f32_e32 v24, 0x3f575c64, v10
	v_add_f32_e32 v20, v20, v23
	v_add_f32_e32 v23, v9, v26
	;; [unrolled: 1-line block ×3, first 2 shown]
	v_mul_f32_e32 v9, 0xbe903f40, v36
	v_fma_f32 v17, 0x3f575c64, v39, -v17
	v_mul_f32_e32 v30, 0xbf75a155, v10
	v_add_f32_e32 v35, v41, v35
	v_add_f32_e32 v28, v38, v28
	v_fmamk_f32 v29, v12, 0x3f0a6770, v24
	v_fmac_f32_e32 v24, 0xbf0a6770, v12
	v_fmamk_f32 v38, v39, 0xbf75a155, v9
	v_add_f32_e32 v17, v17, v19
	v_fmamk_f32 v19, v12, 0x3e903f40, v30
	v_mul_f32_e32 v10, 0x3ed4b147, v10
	v_fmac_f32_e32 v30, 0xbe903f40, v12
	v_add_f32_e32 v27, v29, v27
	v_add_f32_e32 v29, v24, v25
	;; [unrolled: 1-line block ×3, first 2 shown]
	v_mul_f32_e32 v25, 0x3f68dda4, v36
	v_fma_f32 v9, 0xbf75a155, v39, -v9
	v_fmamk_f32 v33, v12, 0xbf68dda4, v10
	v_sub_f32_e32 v36, v13, v14
	v_add_f32_e32 v30, v30, v35
	v_add_f32_e32 v35, v13, v14
	;; [unrolled: 1-line block ×3, first 2 shown]
	v_fmamk_f32 v31, v39, 0x3ed4b147, v25
	v_add_f32_e32 v34, v9, v34
	v_add_f32_e32 v28, v33, v28
	;; [unrolled: 1-line block ×3, first 2 shown]
	v_mul_f32_e32 v9, 0xbe903f40, v36
	v_fma_f32 v13, 0x3ed4b147, v39, -v25
	v_fmac_f32_e32 v10, 0x3f68dda4, v12
	v_sub_f32_e32 v25, v32, v11
	v_mul_f32_e32 v12, 0xbf75a155, v35
	v_add_f32_e32 v31, v31, v37
	v_fmamk_f32 v11, v33, 0xbf75a155, v9
	v_add_f32_e32 v32, v13, v4
	v_add_f32_e32 v37, v10, v5
	v_mul_f32_e32 v13, 0x3f0a6770, v36
	v_fmamk_f32 v5, v25, 0x3e903f40, v12
	v_fma_f32 v9, 0xbf75a155, v33, -v9
	v_fmac_f32_e32 v12, 0xbe903f40, v25
	v_mul_f32_e32 v14, 0x3f575c64, v35
	v_add_f32_e32 v4, v11, v18
	v_fmamk_f32 v10, v33, 0x3f575c64, v13
	v_add_f32_e32 v5, v5, v8
	v_add_f32_e32 v8, v9, v16
	;; [unrolled: 1-line block ×3, first 2 shown]
	v_fmamk_f32 v11, v25, 0xbf0a6770, v14
	v_mul_f32_e32 v15, 0xbf4178ce, v36
	v_fma_f32 v12, 0x3f575c64, v33, -v13
	v_mul_f32_e32 v38, 0xbf27a4f4, v35
	v_add_f32_e32 v10, v10, v21
	v_fmac_f32_e32 v14, 0x3f0a6770, v25
	v_add_f32_e32 v11, v11, v22
	v_fmamk_f32 v16, v33, 0xbf27a4f4, v15
	v_fma_f32 v21, 0xbf27a4f4, v33, -v15
	v_mul_f32_e32 v22, 0x3ed4b147, v35
	v_add_f32_e32 v12, v12, v20
	v_fmamk_f32 v18, v25, 0x3f4178ce, v38
	v_mul_f32_e32 v20, 0x3f68dda4, v36
	v_add_f32_e32 v13, v14, v23
	v_add_f32_e32 v14, v16, v26
	;; [unrolled: 1-line block ×3, first 2 shown]
	v_fmamk_f32 v17, v25, 0xbf68dda4, v22
	v_mul_f32_e32 v21, 0xbf7d64f0, v36
	v_mul_f32_e32 v26, 0xbe11bafb, v35
	v_add_f32_e32 v15, v18, v27
	v_fmamk_f32 v18, v33, 0x3ed4b147, v20
	v_add_f32_e32 v19, v17, v19
	v_fmac_f32_e32 v22, 0x3f68dda4, v25
	v_fmamk_f32 v17, v33, 0xbe11bafb, v21
	v_fmamk_f32 v23, v25, 0x3f7d64f0, v26
	v_fma_f32 v20, 0x3ed4b147, v33, -v20
	v_add_f32_e32 v18, v18, v24
	v_fma_f32 v24, 0xbe11bafb, v33, -v21
	v_fmac_f32_e32 v26, 0xbf7d64f0, v25
	v_fmac_f32_e32 v38, 0xbf4178ce, v25
	v_add_f32_e32 v21, v22, v30
	v_add_f32_e32 v22, v17, v31
	;; [unrolled: 1-line block ×7, first 2 shown]
	ds_write2_b64 v113, v[6:7], v[4:5] offset1:165
	ds_write2_b64 v3, v[10:11], v[14:15] offset0:74 offset1:239
	ds_write2_b64 v2, v[18:19], v[22:23] offset0:20 offset1:185
	;; [unrolled: 1-line block ×4, first 2 shown]
	ds_write_b64 v113, v[8:9] offset:13200
	s_waitcnt lgkmcnt(0)
	s_barrier
	buffer_gl0_inv
	ds_read2_b64 v[4:7], v113 offset1:165
	v_mad_u64_u32 v[12:13], null, s10, v76, 0
	v_mad_u64_u32 v[16:17], null, s8, v114, 0
	s_waitcnt lgkmcnt(0)
	v_mul_f32_e32 v8, v92, v5
	v_mul_f32_e32 v9, v92, v4
	;; [unrolled: 1-line block ×3, first 2 shown]
	v_fmac_f32_e32 v8, v91, v4
	v_fma_f32 v9, v91, v5, -v9
	v_fmac_f32_e32 v18, v89, v6
	v_cvt_f64_f32_e32 v[4:5], v8
	v_cvt_f64_f32_e32 v[8:9], v9
	v_mul_f64 v[4:5], v[4:5], s[0:1]
	v_mul_f64 v[14:15], v[8:9], s[0:1]
	ds_read2_b64 v[8:11], v3 offset0:74 offset1:239
	v_mul_f32_e32 v3, v90, v6
	v_fma_f32 v19, v89, v7, -v3
	v_cvt_f64_f32_e32 v[6:7], v18
	v_mov_b32_e32 v3, v13
	v_cvt_f64_f32_e32 v[18:19], v19
	v_mad_u64_u32 v[20:21], null, s11, v76, v[3:4]
	v_mov_b32_e32 v3, v17
	s_waitcnt lgkmcnt(0)
	v_mul_f32_e32 v17, v98, v8
	v_cvt_f32_f64_e32 v23, v[14:15]
	v_mad_u64_u32 v[21:22], null, s9, v114, v[3:4]
	v_mul_f32_e32 v3, v98, v9
	v_mov_b32_e32 v13, v20
	v_cvt_f32_f64_e32 v22, v[4:5]
	v_fma_f32 v4, v97, v9, -v17
	v_mul_f64 v[6:7], v[6:7], s[0:1]
	v_fmac_f32_e32 v3, v97, v8
	v_lshlrev_b64 v[8:9], 3, v[12:13]
	v_mov_b32_e32 v17, v21
	v_cvt_f64_f32_e32 v[14:15], v4
	v_mul_f64 v[18:19], v[18:19], s[0:1]
	v_cvt_f64_f32_e32 v[12:13], v3
	ds_read2_b64 v[2:5], v2 offset0:20 offset1:185
	v_lshlrev_b64 v[16:17], 3, v[16:17]
	v_add_co_u32 v8, vcc_lo, s4, v8
	v_add_co_ci_u32_e32 v9, vcc_lo, s5, v9, vcc_lo
	v_add_co_u32 v16, vcc_lo, v8, v16
	v_add_co_ci_u32_e32 v17, vcc_lo, v9, v17, vcc_lo
	v_mul_f32_e32 v8, v96, v11
	global_store_dwordx2 v[16:17], v[22:23], off
	v_cvt_f32_f64_e32 v20, v[6:7]
	v_mul_f32_e32 v6, v96, v10
	v_fmac_f32_e32 v8, v95, v10
	v_add_co_u32 v16, vcc_lo, v16, s3
	s_waitcnt lgkmcnt(0)
	v_mul_f32_e32 v7, v94, v3
	v_mul_f32_e32 v9, v94, v2
	v_fma_f32 v6, v95, v11, -v6
	v_mul_f32_e32 v26, v88, v5
	v_cvt_f32_f64_e32 v21, v[18:19]
	v_fmac_f32_e32 v7, v93, v2
	v_fma_f32 v2, v93, v3, -v9
	v_cvt_f64_f32_e32 v[10:11], v8
	v_cvt_f64_f32_e32 v[18:19], v6
	v_mul_f32_e32 v27, v88, v4
	v_cvt_f64_f32_e32 v[22:23], v7
	v_cvt_f64_f32_e32 v[24:25], v2
	ds_read2_b64 v[6:9], v1 offset0:30 offset1:195
	ds_read2_b64 v[0:3], v0 offset0:40 offset1:205
	v_fmac_f32_e32 v26, v87, v4
	v_mul_f64 v[12:13], v[12:13], s[0:1]
	v_mul_f64 v[14:15], v[14:15], s[0:1]
	v_fma_f32 v28, v87, v5, -v27
	v_add_co_ci_u32_e32 v17, vcc_lo, s2, v17, vcc_lo
	v_cvt_f64_f32_e32 v[28:29], v28
	v_mul_f64 v[10:11], v[10:11], s[0:1]
	v_mul_f64 v[18:19], v[18:19], s[0:1]
	;; [unrolled: 1-line block ×4, first 2 shown]
	v_cvt_f64_f32_e32 v[24:25], v26
	ds_read_b64 v[26:27], v113 offset:13200
	s_waitcnt lgkmcnt(1)
	v_mul_f32_e32 v34, v78, v1
	v_mul_f32_e32 v30, v80, v7
	;; [unrolled: 1-line block ×5, first 2 shown]
	v_fmac_f32_e32 v34, v77, v0
	v_mul_f32_e32 v0, v78, v0
	v_mul_f32_e32 v36, v84, v3
	;; [unrolled: 1-line block ×3, first 2 shown]
	v_fmac_f32_e32 v30, v79, v6
	v_fma_f32 v31, v79, v7, -v31
	v_cvt_f32_f64_e32 v12, v[12:13]
	v_cvt_f32_f64_e32 v13, v[14:15]
	v_fmac_f32_e32 v32, v81, v8
	v_fma_f32 v33, v81, v9, -v33
	v_fma_f32 v0, v77, v1, -v0
	v_fmac_f32_e32 v36, v83, v2
	v_fma_f32 v37, v83, v3, -v37
	v_cvt_f64_f32_e32 v[6:7], v30
	s_waitcnt lgkmcnt(0)
	v_mul_f32_e32 v38, v86, v27
	v_mul_f32_e32 v39, v86, v26
	v_cvt_f64_f32_e32 v[8:9], v31
	v_cvt_f64_f32_e32 v[30:31], v32
	;; [unrolled: 1-line block ×3, first 2 shown]
	v_fmac_f32_e32 v38, v85, v26
	v_fma_f32 v39, v85, v27, -v39
	v_cvt_f64_f32_e32 v[34:35], v34
	v_cvt_f64_f32_e32 v[0:1], v0
	v_cvt_f64_f32_e32 v[2:3], v36
	v_cvt_f64_f32_e32 v[26:27], v37
	v_cvt_f64_f32_e32 v[36:37], v38
	v_cvt_f64_f32_e32 v[38:39], v39
	v_add_co_u32 v14, vcc_lo, v16, s3
	v_add_co_ci_u32_e32 v15, vcc_lo, s2, v17, vcc_lo
	global_store_dwordx2 v[16:17], v[20:21], off
	global_store_dwordx2 v[14:15], v[12:13], off
	v_mul_f64 v[12:13], v[24:25], s[0:1]
	v_mul_f64 v[16:17], v[28:29], s[0:1]
	;; [unrolled: 1-line block ×3, first 2 shown]
	v_cvt_f32_f64_e32 v10, v[10:11]
	v_mul_f64 v[8:9], v[8:9], s[0:1]
	v_cvt_f32_f64_e32 v11, v[18:19]
	v_mul_f64 v[18:19], v[30:31], s[0:1]
	v_mul_f64 v[20:21], v[32:33], s[0:1]
	v_cvt_f32_f64_e32 v4, v[4:5]
	v_cvt_f32_f64_e32 v5, v[22:23]
	v_mul_f64 v[22:23], v[34:35], s[0:1]
	v_mul_f64 v[0:1], v[0:1], s[0:1]
	;; [unrolled: 1-line block ×6, first 2 shown]
	v_add_co_u32 v14, vcc_lo, v14, s3
	v_add_co_ci_u32_e32 v15, vcc_lo, s2, v15, vcc_lo
	v_add_co_u32 v30, vcc_lo, v14, s3
	v_add_co_ci_u32_e32 v31, vcc_lo, s2, v15, vcc_lo
	v_cvt_f32_f64_e32 v12, v[12:13]
	v_cvt_f32_f64_e32 v13, v[16:17]
	v_add_co_u32 v16, vcc_lo, v30, s3
	v_add_co_ci_u32_e32 v17, vcc_lo, s2, v31, vcc_lo
	v_cvt_f32_f64_e32 v6, v[6:7]
	v_cvt_f32_f64_e32 v7, v[8:9]
	;; [unrolled: 4-line block ×3, first 2 shown]
	v_cvt_f32_f64_e32 v20, v[22:23]
	v_cvt_f32_f64_e32 v21, v[0:1]
	v_cvt_f32_f64_e32 v0, v[2:3]
	v_cvt_f32_f64_e32 v1, v[24:25]
	v_cvt_f32_f64_e32 v2, v[26:27]
	v_cvt_f32_f64_e32 v3, v[28:29]
	v_add_co_u32 v22, vcc_lo, v8, s3
	v_add_co_ci_u32_e32 v23, vcc_lo, s2, v9, vcc_lo
	global_store_dwordx2 v[14:15], v[10:11], off
	v_add_co_u32 v10, vcc_lo, v22, s3
	v_add_co_ci_u32_e32 v11, vcc_lo, s2, v23, vcc_lo
	global_store_dwordx2 v[30:31], v[4:5], off
	;; [unrolled: 3-line block ×4, first 2 shown]
	global_store_dwordx2 v[22:23], v[18:19], off
	global_store_dwordx2 v[10:11], v[20:21], off
	;; [unrolled: 1-line block ×4, first 2 shown]
.LBB0_18:
	s_endpgm
	.section	.rodata,"a",@progbits
	.p2align	6, 0x0
	.amdhsa_kernel bluestein_single_fwd_len1815_dim1_sp_op_CI_CI
		.amdhsa_group_segment_fixed_size 14520
		.amdhsa_private_segment_fixed_size 0
		.amdhsa_kernarg_size 104
		.amdhsa_user_sgpr_count 6
		.amdhsa_user_sgpr_private_segment_buffer 1
		.amdhsa_user_sgpr_dispatch_ptr 0
		.amdhsa_user_sgpr_queue_ptr 0
		.amdhsa_user_sgpr_kernarg_segment_ptr 1
		.amdhsa_user_sgpr_dispatch_id 0
		.amdhsa_user_sgpr_flat_scratch_init 0
		.amdhsa_user_sgpr_private_segment_size 0
		.amdhsa_wavefront_size32 1
		.amdhsa_uses_dynamic_stack 0
		.amdhsa_system_sgpr_private_segment_wavefront_offset 0
		.amdhsa_system_sgpr_workgroup_id_x 1
		.amdhsa_system_sgpr_workgroup_id_y 0
		.amdhsa_system_sgpr_workgroup_id_z 0
		.amdhsa_system_sgpr_workgroup_info 0
		.amdhsa_system_vgpr_workitem_id 0
		.amdhsa_next_free_vgpr 235
		.amdhsa_next_free_sgpr 20
		.amdhsa_reserve_vcc 1
		.amdhsa_reserve_flat_scratch 0
		.amdhsa_float_round_mode_32 0
		.amdhsa_float_round_mode_16_64 0
		.amdhsa_float_denorm_mode_32 3
		.amdhsa_float_denorm_mode_16_64 3
		.amdhsa_dx10_clamp 1
		.amdhsa_ieee_mode 1
		.amdhsa_fp16_overflow 0
		.amdhsa_workgroup_processor_mode 1
		.amdhsa_memory_ordered 1
		.amdhsa_forward_progress 0
		.amdhsa_shared_vgpr_count 0
		.amdhsa_exception_fp_ieee_invalid_op 0
		.amdhsa_exception_fp_denorm_src 0
		.amdhsa_exception_fp_ieee_div_zero 0
		.amdhsa_exception_fp_ieee_overflow 0
		.amdhsa_exception_fp_ieee_underflow 0
		.amdhsa_exception_fp_ieee_inexact 0
		.amdhsa_exception_int_div_zero 0
	.end_amdhsa_kernel
	.text
.Lfunc_end0:
	.size	bluestein_single_fwd_len1815_dim1_sp_op_CI_CI, .Lfunc_end0-bluestein_single_fwd_len1815_dim1_sp_op_CI_CI
                                        ; -- End function
	.section	.AMDGPU.csdata,"",@progbits
; Kernel info:
; codeLenInByte = 16436
; NumSgprs: 22
; NumVgprs: 235
; ScratchSize: 0
; MemoryBound: 0
; FloatMode: 240
; IeeeMode: 1
; LDSByteSize: 14520 bytes/workgroup (compile time only)
; SGPRBlocks: 2
; VGPRBlocks: 29
; NumSGPRsForWavesPerEU: 22
; NumVGPRsForWavesPerEU: 235
; Occupancy: 4
; WaveLimiterHint : 1
; COMPUTE_PGM_RSRC2:SCRATCH_EN: 0
; COMPUTE_PGM_RSRC2:USER_SGPR: 6
; COMPUTE_PGM_RSRC2:TRAP_HANDLER: 0
; COMPUTE_PGM_RSRC2:TGID_X_EN: 1
; COMPUTE_PGM_RSRC2:TGID_Y_EN: 0
; COMPUTE_PGM_RSRC2:TGID_Z_EN: 0
; COMPUTE_PGM_RSRC2:TIDIG_COMP_CNT: 0
	.text
	.p2alignl 6, 3214868480
	.fill 48, 4, 3214868480
	.type	__hip_cuid_ee6a390891ca5c41,@object ; @__hip_cuid_ee6a390891ca5c41
	.section	.bss,"aw",@nobits
	.globl	__hip_cuid_ee6a390891ca5c41
__hip_cuid_ee6a390891ca5c41:
	.byte	0                               ; 0x0
	.size	__hip_cuid_ee6a390891ca5c41, 1

	.ident	"AMD clang version 19.0.0git (https://github.com/RadeonOpenCompute/llvm-project roc-6.4.0 25133 c7fe45cf4b819c5991fe208aaa96edf142730f1d)"
	.section	".note.GNU-stack","",@progbits
	.addrsig
	.addrsig_sym __hip_cuid_ee6a390891ca5c41
	.amdgpu_metadata
---
amdhsa.kernels:
  - .args:
      - .actual_access:  read_only
        .address_space:  global
        .offset:         0
        .size:           8
        .value_kind:     global_buffer
      - .actual_access:  read_only
        .address_space:  global
        .offset:         8
        .size:           8
        .value_kind:     global_buffer
      - .actual_access:  read_only
        .address_space:  global
        .offset:         16
        .size:           8
        .value_kind:     global_buffer
      - .actual_access:  read_only
        .address_space:  global
        .offset:         24
        .size:           8
        .value_kind:     global_buffer
      - .actual_access:  read_only
        .address_space:  global
        .offset:         32
        .size:           8
        .value_kind:     global_buffer
      - .offset:         40
        .size:           8
        .value_kind:     by_value
      - .address_space:  global
        .offset:         48
        .size:           8
        .value_kind:     global_buffer
      - .address_space:  global
        .offset:         56
        .size:           8
        .value_kind:     global_buffer
      - .address_space:  global
        .offset:         64
        .size:           8
        .value_kind:     global_buffer
      - .address_space:  global
        .offset:         72
        .size:           8
        .value_kind:     global_buffer
      - .offset:         80
        .size:           4
        .value_kind:     by_value
      - .address_space:  global
        .offset:         88
        .size:           8
        .value_kind:     global_buffer
      - .address_space:  global
        .offset:         96
        .size:           8
        .value_kind:     global_buffer
    .group_segment_fixed_size: 14520
    .kernarg_segment_align: 8
    .kernarg_segment_size: 104
    .language:       OpenCL C
    .language_version:
      - 2
      - 0
    .max_flat_workgroup_size: 165
    .name:           bluestein_single_fwd_len1815_dim1_sp_op_CI_CI
    .private_segment_fixed_size: 0
    .sgpr_count:     22
    .sgpr_spill_count: 0
    .symbol:         bluestein_single_fwd_len1815_dim1_sp_op_CI_CI.kd
    .uniform_work_group_size: 1
    .uses_dynamic_stack: false
    .vgpr_count:     235
    .vgpr_spill_count: 0
    .wavefront_size: 32
    .workgroup_processor_mode: 1
amdhsa.target:   amdgcn-amd-amdhsa--gfx1030
amdhsa.version:
  - 1
  - 2
...

	.end_amdgpu_metadata
